;; amdgpu-corpus repo=ROCm/rocFFT kind=compiled arch=gfx1100 opt=O3
	.text
	.amdgcn_target "amdgcn-amd-amdhsa--gfx1100"
	.amdhsa_code_object_version 6
	.protected	fft_rtc_fwd_len784_factors_2_2_2_2_7_7_wgs_56_tpt_56_halfLds_dp_op_CI_CI_unitstride_sbrr_R2C_dirReg ; -- Begin function fft_rtc_fwd_len784_factors_2_2_2_2_7_7_wgs_56_tpt_56_halfLds_dp_op_CI_CI_unitstride_sbrr_R2C_dirReg
	.globl	fft_rtc_fwd_len784_factors_2_2_2_2_7_7_wgs_56_tpt_56_halfLds_dp_op_CI_CI_unitstride_sbrr_R2C_dirReg
	.p2align	8
	.type	fft_rtc_fwd_len784_factors_2_2_2_2_7_7_wgs_56_tpt_56_halfLds_dp_op_CI_CI_unitstride_sbrr_R2C_dirReg,@function
fft_rtc_fwd_len784_factors_2_2_2_2_7_7_wgs_56_tpt_56_halfLds_dp_op_CI_CI_unitstride_sbrr_R2C_dirReg: ; @fft_rtc_fwd_len784_factors_2_2_2_2_7_7_wgs_56_tpt_56_halfLds_dp_op_CI_CI_unitstride_sbrr_R2C_dirReg
; %bb.0:
	s_clause 0x2
	s_load_b128 s[8:11], s[0:1], 0x0
	s_load_b128 s[4:7], s[0:1], 0x58
	;; [unrolled: 1-line block ×3, first 2 shown]
	v_mul_u32_u24_e32 v1, 0x493, v0
	v_mov_b32_e32 v3, 0
	s_delay_alu instid0(VALU_DEP_2) | instskip(NEXT) | instid1(VALU_DEP_1)
	v_lshrrev_b32_e32 v1, 16, v1
	v_add_nc_u32_e32 v5, s15, v1
	v_mov_b32_e32 v1, 0
	v_mov_b32_e32 v2, 0
	;; [unrolled: 1-line block ×3, first 2 shown]
	s_waitcnt lgkmcnt(0)
	v_cmp_lt_u64_e64 s2, s[10:11], 2
	s_delay_alu instid0(VALU_DEP_1)
	s_and_b32 vcc_lo, exec_lo, s2
	s_cbranch_vccnz .LBB0_8
; %bb.1:
	s_load_b64 s[2:3], s[0:1], 0x10
	v_mov_b32_e32 v1, 0
	v_mov_b32_e32 v2, 0
	s_add_u32 s12, s18, 8
	s_addc_u32 s13, s19, 0
	s_add_u32 s14, s16, 8
	s_addc_u32 s15, s17, 0
	v_dual_mov_b32 v21, v2 :: v_dual_mov_b32 v20, v1
	s_mov_b64 s[22:23], 1
	s_waitcnt lgkmcnt(0)
	s_add_u32 s20, s2, 8
	s_addc_u32 s21, s3, 0
.LBB0_2:                                ; =>This Inner Loop Header: Depth=1
	s_load_b64 s[24:25], s[20:21], 0x0
                                        ; implicit-def: $vgpr24_vgpr25
	s_mov_b32 s2, exec_lo
	s_waitcnt lgkmcnt(0)
	v_or_b32_e32 v4, s25, v6
	s_delay_alu instid0(VALU_DEP_1)
	v_cmpx_ne_u64_e32 0, v[3:4]
	s_xor_b32 s3, exec_lo, s2
	s_cbranch_execz .LBB0_4
; %bb.3:                                ;   in Loop: Header=BB0_2 Depth=1
	v_cvt_f32_u32_e32 v4, s24
	v_cvt_f32_u32_e32 v7, s25
	s_sub_u32 s2, 0, s24
	s_subb_u32 s26, 0, s25
	s_delay_alu instid0(VALU_DEP_1) | instskip(NEXT) | instid1(VALU_DEP_1)
	v_fmac_f32_e32 v4, 0x4f800000, v7
	v_rcp_f32_e32 v4, v4
	s_waitcnt_depctr 0xfff
	v_mul_f32_e32 v4, 0x5f7ffffc, v4
	s_delay_alu instid0(VALU_DEP_1) | instskip(NEXT) | instid1(VALU_DEP_1)
	v_mul_f32_e32 v7, 0x2f800000, v4
	v_trunc_f32_e32 v7, v7
	s_delay_alu instid0(VALU_DEP_1) | instskip(SKIP_1) | instid1(VALU_DEP_2)
	v_fmac_f32_e32 v4, 0xcf800000, v7
	v_cvt_u32_f32_e32 v7, v7
	v_cvt_u32_f32_e32 v4, v4
	s_delay_alu instid0(VALU_DEP_2) | instskip(NEXT) | instid1(VALU_DEP_2)
	v_mul_lo_u32 v8, s2, v7
	v_mul_hi_u32 v9, s2, v4
	v_mul_lo_u32 v10, s26, v4
	s_delay_alu instid0(VALU_DEP_2) | instskip(SKIP_1) | instid1(VALU_DEP_2)
	v_add_nc_u32_e32 v8, v9, v8
	v_mul_lo_u32 v9, s2, v4
	v_add_nc_u32_e32 v8, v8, v10
	s_delay_alu instid0(VALU_DEP_2) | instskip(NEXT) | instid1(VALU_DEP_2)
	v_mul_hi_u32 v10, v4, v9
	v_mul_lo_u32 v11, v4, v8
	v_mul_hi_u32 v12, v4, v8
	v_mul_hi_u32 v13, v7, v9
	v_mul_lo_u32 v9, v7, v9
	v_mul_hi_u32 v14, v7, v8
	v_mul_lo_u32 v8, v7, v8
	v_add_co_u32 v10, vcc_lo, v10, v11
	v_add_co_ci_u32_e32 v11, vcc_lo, 0, v12, vcc_lo
	s_delay_alu instid0(VALU_DEP_2) | instskip(NEXT) | instid1(VALU_DEP_2)
	v_add_co_u32 v9, vcc_lo, v10, v9
	v_add_co_ci_u32_e32 v9, vcc_lo, v11, v13, vcc_lo
	v_add_co_ci_u32_e32 v10, vcc_lo, 0, v14, vcc_lo
	s_delay_alu instid0(VALU_DEP_2) | instskip(NEXT) | instid1(VALU_DEP_2)
	v_add_co_u32 v8, vcc_lo, v9, v8
	v_add_co_ci_u32_e32 v9, vcc_lo, 0, v10, vcc_lo
	s_delay_alu instid0(VALU_DEP_2) | instskip(NEXT) | instid1(VALU_DEP_2)
	v_add_co_u32 v4, vcc_lo, v4, v8
	v_add_co_ci_u32_e32 v7, vcc_lo, v7, v9, vcc_lo
	s_delay_alu instid0(VALU_DEP_2) | instskip(SKIP_1) | instid1(VALU_DEP_3)
	v_mul_hi_u32 v8, s2, v4
	v_mul_lo_u32 v10, s26, v4
	v_mul_lo_u32 v9, s2, v7
	s_delay_alu instid0(VALU_DEP_1) | instskip(SKIP_1) | instid1(VALU_DEP_2)
	v_add_nc_u32_e32 v8, v8, v9
	v_mul_lo_u32 v9, s2, v4
	v_add_nc_u32_e32 v8, v8, v10
	s_delay_alu instid0(VALU_DEP_2) | instskip(NEXT) | instid1(VALU_DEP_2)
	v_mul_hi_u32 v10, v4, v9
	v_mul_lo_u32 v11, v4, v8
	v_mul_hi_u32 v12, v4, v8
	v_mul_hi_u32 v13, v7, v9
	v_mul_lo_u32 v9, v7, v9
	v_mul_hi_u32 v14, v7, v8
	v_mul_lo_u32 v8, v7, v8
	v_add_co_u32 v10, vcc_lo, v10, v11
	v_add_co_ci_u32_e32 v11, vcc_lo, 0, v12, vcc_lo
	s_delay_alu instid0(VALU_DEP_2) | instskip(NEXT) | instid1(VALU_DEP_2)
	v_add_co_u32 v9, vcc_lo, v10, v9
	v_add_co_ci_u32_e32 v9, vcc_lo, v11, v13, vcc_lo
	v_add_co_ci_u32_e32 v10, vcc_lo, 0, v14, vcc_lo
	s_delay_alu instid0(VALU_DEP_2) | instskip(NEXT) | instid1(VALU_DEP_2)
	v_add_co_u32 v8, vcc_lo, v9, v8
	v_add_co_ci_u32_e32 v9, vcc_lo, 0, v10, vcc_lo
	s_delay_alu instid0(VALU_DEP_2) | instskip(NEXT) | instid1(VALU_DEP_2)
	v_add_co_u32 v4, vcc_lo, v4, v8
	v_add_co_ci_u32_e32 v13, vcc_lo, v7, v9, vcc_lo
	s_delay_alu instid0(VALU_DEP_2) | instskip(SKIP_1) | instid1(VALU_DEP_3)
	v_mul_hi_u32 v14, v5, v4
	v_mad_u64_u32 v[9:10], null, v6, v4, 0
	v_mad_u64_u32 v[7:8], null, v5, v13, 0
	;; [unrolled: 1-line block ×3, first 2 shown]
	s_delay_alu instid0(VALU_DEP_2) | instskip(NEXT) | instid1(VALU_DEP_3)
	v_add_co_u32 v4, vcc_lo, v14, v7
	v_add_co_ci_u32_e32 v7, vcc_lo, 0, v8, vcc_lo
	s_delay_alu instid0(VALU_DEP_2) | instskip(NEXT) | instid1(VALU_DEP_2)
	v_add_co_u32 v4, vcc_lo, v4, v9
	v_add_co_ci_u32_e32 v4, vcc_lo, v7, v10, vcc_lo
	v_add_co_ci_u32_e32 v7, vcc_lo, 0, v12, vcc_lo
	s_delay_alu instid0(VALU_DEP_2) | instskip(NEXT) | instid1(VALU_DEP_2)
	v_add_co_u32 v4, vcc_lo, v4, v11
	v_add_co_ci_u32_e32 v9, vcc_lo, 0, v7, vcc_lo
	s_delay_alu instid0(VALU_DEP_2) | instskip(SKIP_1) | instid1(VALU_DEP_3)
	v_mul_lo_u32 v10, s25, v4
	v_mad_u64_u32 v[7:8], null, s24, v4, 0
	v_mul_lo_u32 v11, s24, v9
	s_delay_alu instid0(VALU_DEP_2) | instskip(NEXT) | instid1(VALU_DEP_2)
	v_sub_co_u32 v7, vcc_lo, v5, v7
	v_add3_u32 v8, v8, v11, v10
	s_delay_alu instid0(VALU_DEP_1) | instskip(NEXT) | instid1(VALU_DEP_1)
	v_sub_nc_u32_e32 v10, v6, v8
	v_subrev_co_ci_u32_e64 v10, s2, s25, v10, vcc_lo
	v_add_co_u32 v11, s2, v4, 2
	s_delay_alu instid0(VALU_DEP_1) | instskip(SKIP_3) | instid1(VALU_DEP_3)
	v_add_co_ci_u32_e64 v12, s2, 0, v9, s2
	v_sub_co_u32 v13, s2, v7, s24
	v_sub_co_ci_u32_e32 v8, vcc_lo, v6, v8, vcc_lo
	v_subrev_co_ci_u32_e64 v10, s2, 0, v10, s2
	v_cmp_le_u32_e32 vcc_lo, s24, v13
	s_delay_alu instid0(VALU_DEP_3) | instskip(SKIP_1) | instid1(VALU_DEP_4)
	v_cmp_eq_u32_e64 s2, s25, v8
	v_cndmask_b32_e64 v13, 0, -1, vcc_lo
	v_cmp_le_u32_e32 vcc_lo, s25, v10
	v_cndmask_b32_e64 v14, 0, -1, vcc_lo
	v_cmp_le_u32_e32 vcc_lo, s24, v7
	;; [unrolled: 2-line block ×3, first 2 shown]
	v_cndmask_b32_e64 v15, 0, -1, vcc_lo
	v_cmp_eq_u32_e32 vcc_lo, s25, v10
	s_delay_alu instid0(VALU_DEP_2) | instskip(SKIP_3) | instid1(VALU_DEP_3)
	v_cndmask_b32_e64 v7, v15, v7, s2
	v_cndmask_b32_e32 v10, v14, v13, vcc_lo
	v_add_co_u32 v13, vcc_lo, v4, 1
	v_add_co_ci_u32_e32 v14, vcc_lo, 0, v9, vcc_lo
	v_cmp_ne_u32_e32 vcc_lo, 0, v10
	s_delay_alu instid0(VALU_DEP_2) | instskip(NEXT) | instid1(VALU_DEP_4)
	v_cndmask_b32_e32 v8, v14, v12, vcc_lo
	v_cndmask_b32_e32 v10, v13, v11, vcc_lo
	v_cmp_ne_u32_e32 vcc_lo, 0, v7
	s_delay_alu instid0(VALU_DEP_2)
	v_dual_cndmask_b32 v25, v9, v8 :: v_dual_cndmask_b32 v24, v4, v10
.LBB0_4:                                ;   in Loop: Header=BB0_2 Depth=1
	s_and_not1_saveexec_b32 s2, s3
	s_cbranch_execz .LBB0_6
; %bb.5:                                ;   in Loop: Header=BB0_2 Depth=1
	v_cvt_f32_u32_e32 v4, s24
	s_sub_i32 s3, 0, s24
	v_mov_b32_e32 v25, v3
	s_delay_alu instid0(VALU_DEP_2) | instskip(SKIP_2) | instid1(VALU_DEP_1)
	v_rcp_iflag_f32_e32 v4, v4
	s_waitcnt_depctr 0xfff
	v_mul_f32_e32 v4, 0x4f7ffffe, v4
	v_cvt_u32_f32_e32 v4, v4
	s_delay_alu instid0(VALU_DEP_1) | instskip(NEXT) | instid1(VALU_DEP_1)
	v_mul_lo_u32 v7, s3, v4
	v_mul_hi_u32 v7, v4, v7
	s_delay_alu instid0(VALU_DEP_1) | instskip(NEXT) | instid1(VALU_DEP_1)
	v_add_nc_u32_e32 v4, v4, v7
	v_mul_hi_u32 v4, v5, v4
	s_delay_alu instid0(VALU_DEP_1) | instskip(SKIP_1) | instid1(VALU_DEP_2)
	v_mul_lo_u32 v7, v4, s24
	v_add_nc_u32_e32 v8, 1, v4
	v_sub_nc_u32_e32 v7, v5, v7
	s_delay_alu instid0(VALU_DEP_1) | instskip(SKIP_1) | instid1(VALU_DEP_2)
	v_subrev_nc_u32_e32 v9, s24, v7
	v_cmp_le_u32_e32 vcc_lo, s24, v7
	v_dual_cndmask_b32 v7, v7, v9 :: v_dual_cndmask_b32 v4, v4, v8
	s_delay_alu instid0(VALU_DEP_1) | instskip(NEXT) | instid1(VALU_DEP_2)
	v_cmp_le_u32_e32 vcc_lo, s24, v7
	v_add_nc_u32_e32 v8, 1, v4
	s_delay_alu instid0(VALU_DEP_1)
	v_cndmask_b32_e32 v24, v4, v8, vcc_lo
.LBB0_6:                                ;   in Loop: Header=BB0_2 Depth=1
	s_or_b32 exec_lo, exec_lo, s2
	s_delay_alu instid0(VALU_DEP_1) | instskip(NEXT) | instid1(VALU_DEP_2)
	v_mul_lo_u32 v4, v25, s24
	v_mul_lo_u32 v9, v24, s25
	s_load_b64 s[2:3], s[14:15], 0x0
	v_mad_u64_u32 v[7:8], null, v24, s24, 0
	s_load_b64 s[24:25], s[12:13], 0x0
	s_add_u32 s22, s22, 1
	s_addc_u32 s23, s23, 0
	s_add_u32 s12, s12, 8
	s_addc_u32 s13, s13, 0
	s_add_u32 s14, s14, 8
	s_delay_alu instid0(VALU_DEP_1) | instskip(SKIP_3) | instid1(VALU_DEP_2)
	v_add3_u32 v4, v8, v9, v4
	v_sub_co_u32 v8, vcc_lo, v5, v7
	s_addc_u32 s15, s15, 0
	s_add_u32 s20, s20, 8
	v_sub_co_ci_u32_e32 v6, vcc_lo, v6, v4, vcc_lo
	s_addc_u32 s21, s21, 0
	s_waitcnt lgkmcnt(0)
	s_delay_alu instid0(VALU_DEP_1)
	v_mul_lo_u32 v9, s2, v6
	v_mul_lo_u32 v10, s3, v8
	v_mad_u64_u32 v[4:5], null, s2, v8, v[1:2]
	v_mul_lo_u32 v11, s24, v6
	v_mul_lo_u32 v12, s25, v8
	v_mad_u64_u32 v[6:7], null, s24, v8, v[20:21]
	v_cmp_ge_u64_e64 s2, s[22:23], s[10:11]
	v_add3_u32 v2, v10, v5, v9
	s_delay_alu instid0(VALU_DEP_3) | instskip(NEXT) | instid1(VALU_DEP_4)
	v_dual_mov_b32 v1, v4 :: v_dual_mov_b32 v20, v6
	v_add3_u32 v21, v12, v7, v11
	s_delay_alu instid0(VALU_DEP_4)
	s_and_b32 vcc_lo, exec_lo, s2
	s_cbranch_vccnz .LBB0_9
; %bb.7:                                ;   in Loop: Header=BB0_2 Depth=1
	v_dual_mov_b32 v5, v24 :: v_dual_mov_b32 v6, v25
	s_branch .LBB0_2
.LBB0_8:
	v_dual_mov_b32 v21, v2 :: v_dual_mov_b32 v20, v1
	v_dual_mov_b32 v25, v6 :: v_dual_mov_b32 v24, v5
.LBB0_9:
	s_load_b64 s[0:1], s[0:1], 0x28
	v_mul_hi_u32 v3, 0x4924925, v0
	s_lshl_b64 s[10:11], s[10:11], 3
                                        ; implicit-def: $vgpr22
                                        ; implicit-def: $vgpr26
                                        ; implicit-def: $vgpr32
                                        ; implicit-def: $vgpr31
                                        ; implicit-def: $vgpr30
                                        ; implicit-def: $vgpr29
                                        ; implicit-def: $vgpr28
	s_delay_alu instid0(SALU_CYCLE_1) | instskip(SKIP_4) | instid1(VALU_DEP_1)
	s_add_u32 s2, s18, s10
	s_addc_u32 s3, s19, s11
	s_waitcnt lgkmcnt(0)
	v_cmp_gt_u64_e32 vcc_lo, s[0:1], v[24:25]
	v_cmp_le_u64_e64 s0, s[0:1], v[24:25]
	s_and_saveexec_b32 s1, s0
	s_delay_alu instid0(SALU_CYCLE_1)
	s_xor_b32 s0, exec_lo, s1
; %bb.10:
	v_mul_u32_u24_e32 v1, 56, v3
                                        ; implicit-def: $vgpr3
	s_delay_alu instid0(VALU_DEP_1) | instskip(NEXT) | instid1(VALU_DEP_1)
	v_sub_nc_u32_e32 v22, v0, v1
                                        ; implicit-def: $vgpr0
                                        ; implicit-def: $vgpr1_vgpr2
	v_add_nc_u32_e32 v26, 56, v22
	v_add_nc_u32_e32 v32, 0x70, v22
	v_add_nc_u32_e32 v31, 0xa8, v22
	v_add_nc_u32_e32 v30, 0xe0, v22
	v_add_nc_u32_e32 v29, 0x118, v22
	v_add_nc_u32_e32 v28, 0x150, v22
; %bb.11:
	s_and_not1_saveexec_b32 s1, s0
	s_cbranch_execz .LBB0_13
; %bb.12:
	s_add_u32 s10, s16, s10
	s_addc_u32 s11, s17, s11
	v_lshlrev_b64 v[1:2], 4, v[1:2]
	s_load_b64 s[10:11], s[10:11], 0x0
	s_waitcnt lgkmcnt(0)
	v_mul_lo_u32 v6, s11, v24
	v_mul_lo_u32 v7, s10, v25
	v_mad_u64_u32 v[4:5], null, s10, v24, 0
	s_delay_alu instid0(VALU_DEP_1) | instskip(SKIP_1) | instid1(VALU_DEP_2)
	v_add3_u32 v5, v5, v7, v6
	v_mul_u32_u24_e32 v6, 56, v3
	v_lshlrev_b64 v[3:4], 4, v[4:5]
	s_delay_alu instid0(VALU_DEP_2) | instskip(NEXT) | instid1(VALU_DEP_1)
	v_sub_nc_u32_e32 v22, v0, v6
	v_lshlrev_b32_e32 v23, 4, v22
	s_delay_alu instid0(VALU_DEP_3) | instskip(NEXT) | instid1(VALU_DEP_1)
	v_add_co_u32 v0, s0, s4, v3
	v_add_co_ci_u32_e64 v3, s0, s5, v4, s0
	v_add_nc_u32_e32 v32, 0x70, v22
	s_delay_alu instid0(VALU_DEP_3) | instskip(NEXT) | instid1(VALU_DEP_1)
	v_add_co_u32 v0, s0, v0, v1
	v_add_co_ci_u32_e64 v1, s0, v3, v2, s0
	v_or_b32_e32 v2, 0x1c00, v23
	s_delay_alu instid0(VALU_DEP_3) | instskip(NEXT) | instid1(VALU_DEP_1)
	v_add_co_u32 v16, s0, v0, v23
	v_add_co_ci_u32_e64 v17, s0, 0, v1, s0
	s_delay_alu instid0(VALU_DEP_3) | instskip(NEXT) | instid1(VALU_DEP_1)
	v_add_co_u32 v26, s0, v0, v2
	v_add_co_ci_u32_e64 v27, s0, 0, v1, s0
	s_delay_alu instid0(VALU_DEP_4) | instskip(NEXT) | instid1(VALU_DEP_1)
	v_add_co_u32 v28, s0, 0x1000, v16
	v_add_co_ci_u32_e64 v29, s0, 0, v17, s0
	v_add_co_u32 v30, s0, 0x2000, v16
	s_clause 0x3
	global_load_b128 v[0:3], v[16:17], off
	global_load_b128 v[4:7], v[16:17], off offset:896
	global_load_b128 v[8:11], v[16:17], off offset:1792
	;; [unrolled: 1-line block ×3, first 2 shown]
	v_add_co_ci_u32_e64 v31, s0, 0, v17, s0
	s_clause 0x9
	global_load_b128 v[16:19], v[16:17], off offset:3584
	global_load_b128 v[33:36], v[28:29], off offset:384
	global_load_b128 v[37:40], v[28:29], off offset:1280
	global_load_b128 v[41:44], v[28:29], off offset:2176
	global_load_b128 v[45:48], v[26:27], off
	global_load_b128 v[49:52], v[28:29], off offset:3968
	global_load_b128 v[53:56], v[30:31], off offset:768
	;; [unrolled: 1-line block ×5, first 2 shown]
	v_add_nc_u32_e32 v26, 56, v22
	v_add_nc_u32_e32 v23, 0, v23
	;; [unrolled: 1-line block ×6, first 2 shown]
	s_waitcnt vmcnt(13)
	ds_store_b128 v23, v[0:3]
	s_waitcnt vmcnt(12)
	ds_store_b128 v23, v[4:7] offset:896
	s_waitcnt vmcnt(11)
	ds_store_b128 v23, v[8:11] offset:1792
	;; [unrolled: 2-line block ×13, first 2 shown]
.LBB0_13:
	s_or_b32 exec_lo, exec_lo, s1
	v_lshlrev_b32_e32 v23, 4, v22
	s_load_b64 s[2:3], s[2:3], 0x0
	s_waitcnt lgkmcnt(0)
	s_barrier
	buffer_gl0_inv
	v_add_nc_u32_e32 v34, 0, v23
	v_lshlrev_b32_e32 v27, 4, v26
	v_lshlrev_b32_e32 v33, 4, v32
	s_mov_b32 s20, 0xe976ee23
	s_mov_b32 s4, 0x429ad128
	ds_load_b128 v[0:3], v34 offset:6272
	ds_load_b128 v[4:7], v34
	ds_load_b128 v[8:11], v34 offset:896
	ds_load_b128 v[12:15], v34 offset:7168
	;; [unrolled: 1-line block ×12, first 2 shown]
	s_waitcnt lgkmcnt(0)
	s_barrier
	buffer_gl0_inv
	s_mov_b32 s22, 0x37e14327
	s_mov_b32 s21, 0xbfe11646
	;; [unrolled: 1-line block ×4, first 2 shown]
	v_add_f64 v[0:1], v[4:5], -v[0:1]
	v_add_f64 v[2:3], v[6:7], -v[2:3]
	;; [unrolled: 1-line block ×14, first 2 shown]
	s_mov_b32 s10, 0x36b3c0b5
	s_mov_b32 s11, 0x3fac98ee
	;; [unrolled: 1-line block ×14, first 2 shown]
	s_add_u32 s1, s8, 0x30e0
	v_fma_f64 v[4:5], v[4:5], 2.0, -v[0:1]
	v_fma_f64 v[6:7], v[6:7], 2.0, -v[2:3]
	;; [unrolled: 1-line block ×14, first 2 shown]
	v_and_b32_e32 v9, 1, v22
	v_add_nc_u32_e32 v8, v34, v23
	v_lshl_add_u32 v40, v26, 5, 0
	v_lshl_add_u32 v38, v32, 5, 0
	;; [unrolled: 1-line block ×3, first 2 shown]
	v_lshlrev_b32_e32 v10, 4, v9
	v_lshl_add_u32 v39, v30, 5, 0
	v_lshl_add_u32 v37, v29, 5, 0
	;; [unrolled: 1-line block ×3, first 2 shown]
	v_lshlrev_b32_e32 v41, 4, v31
	ds_store_b128 v8, v[0:3] offset:16
	ds_store_b128 v8, v[4:7]
	ds_store_b128 v40, v[12:15] offset:16
	ds_store_b128 v40, v[71:74]
	;; [unrolled: 2-line block ×7, first 2 shown]
	s_waitcnt lgkmcnt(0)
	s_barrier
	buffer_gl0_inv
	global_load_b128 v[0:3], v10, s[8:9]
	ds_load_b128 v[4:7], v34 offset:6272
	ds_load_b128 v[10:13], v34 offset:7168
	;; [unrolled: 1-line block ×7, first 2 shown]
	ds_load_b128 v[58:61], v34
	v_sub_nc_u32_e32 v8, v35, v41
	s_waitcnt vmcnt(0) lgkmcnt(7)
	v_mul_f64 v[18:19], v[6:7], v[2:3]
	v_mul_f64 v[62:63], v[4:5], v[2:3]
	s_waitcnt lgkmcnt(6)
	v_mul_f64 v[64:65], v[12:13], v[2:3]
	v_mul_f64 v[66:67], v[10:11], v[2:3]
	s_waitcnt lgkmcnt(5)
	;; [unrolled: 3-line block ×6, first 2 shown]
	v_mul_f64 v[84:85], v[56:57], v[2:3]
	v_mul_f64 v[2:3], v[54:55], v[2:3]
	v_fma_f64 v[18:19], v[4:5], v[0:1], -v[18:19]
	v_fma_f64 v[5:6], v[6:7], v[0:1], v[62:63]
	v_fma_f64 v[86:87], v[10:11], v[0:1], -v[64:65]
	v_fma_f64 v[88:89], v[12:13], v[0:1], v[66:67]
	;; [unrolled: 2-line block ×7, first 2 shown]
	v_sub_nc_u32_e32 v45, v40, v27
	v_sub_nc_u32_e32 v48, v38, v33
	v_lshlrev_b32_e32 v42, 4, v30
	v_lshlrev_b32_e32 v43, 4, v29
	;; [unrolled: 1-line block ×3, first 2 shown]
	ds_load_b128 v[1:4], v45
	ds_load_b128 v[14:17], v8
	;; [unrolled: 1-line block ×3, first 2 shown]
	v_sub_nc_u32_e32 v46, v39, v42
	v_sub_nc_u32_e32 v7, v37, v43
	;; [unrolled: 1-line block ×3, first 2 shown]
	ds_load_b128 v[49:52], v46
	ds_load_b128 v[53:56], v7
	;; [unrolled: 1-line block ×3, first 2 shown]
	v_lshlrev_b32_e32 v0, 1, v22
	s_waitcnt lgkmcnt(0)
	s_barrier
	buffer_gl0_inv
	v_add_f64 v[66:67], v[58:59], -v[18:19]
	v_add_f64 v[68:69], v[60:61], -v[5:6]
	;; [unrolled: 1-line block ×14, first 2 shown]
	v_lshlrev_b32_e32 v5, 1, v29
	v_lshlrev_b32_e32 v6, 1, v28
	v_and_b32_e32 v19, 3, v22
	v_and_or_b32 v18, 0x7c, v0, v9
	v_and_b32_e32 v103, 7, v22
	v_and_or_b32 v101, 0x2fc, v5, v9
	s_delay_alu instid0(VALU_DEP_4) | instskip(NEXT) | instid1(VALU_DEP_4)
	v_lshlrev_b32_e32 v102, 4, v19
	v_lshl_add_u32 v18, v18, 4, 0
	s_delay_alu instid0(VALU_DEP_3)
	v_lshl_add_u32 v101, v101, 4, 0
	v_fma_f64 v[57:58], v[58:59], 2.0, -v[66:67]
	v_fma_f64 v[59:60], v[60:61], 2.0, -v[68:69]
	;; [unrolled: 1-line block ×14, first 2 shown]
	v_lshlrev_b32_e32 v1, 1, v26
	v_lshlrev_b32_e32 v2, 1, v32
	;; [unrolled: 1-line block ×4, first 2 shown]
	s_delay_alu instid0(VALU_DEP_4) | instskip(NEXT) | instid1(VALU_DEP_4)
	v_and_or_b32 v65, 0xfc, v1, v9
	v_and_or_b32 v98, 0x1fc, v2, v9
	s_delay_alu instid0(VALU_DEP_4) | instskip(NEXT) | instid1(VALU_DEP_4)
	v_and_or_b32 v99, 0x1fc, v3, v9
	v_and_or_b32 v100, 0x3fc, v4, v9
	;; [unrolled: 1-line block ×3, first 2 shown]
	v_lshl_add_u32 v65, v65, 4, 0
	v_lshl_add_u32 v98, v98, 4, 0
	;; [unrolled: 1-line block ×5, first 2 shown]
	ds_store_b128 v18, v[66:69] offset:32
	ds_store_b128 v18, v[57:60]
	ds_store_b128 v65, v[94:97]
	ds_store_b128 v65, v[70:73] offset:32
	ds_store_b128 v98, v[10:13]
	ds_store_b128 v98, v[74:77] offset:32
	ds_store_b128 v99, v[14:17]
	ds_store_b128 v99, v[78:81] offset:32
	ds_store_b128 v100, v[49:52]
	ds_store_b128 v100, v[82:85] offset:32
	ds_store_b128 v101, v[53:56]
	ds_store_b128 v101, v[86:89] offset:32
	ds_store_b128 v9, v[61:64]
	ds_store_b128 v9, v[90:93] offset:32
	s_waitcnt lgkmcnt(0)
	s_barrier
	buffer_gl0_inv
	global_load_b128 v[9:12], v102, s[8:9] offset:32
	ds_load_b128 v[13:16], v34 offset:6272
	ds_load_b128 v[49:52], v34 offset:7168
	;; [unrolled: 1-line block ×7, first 2 shown]
	ds_load_b128 v[73:76], v34
	s_waitcnt vmcnt(0) lgkmcnt(7)
	v_mul_f64 v[17:18], v[15:16], v[11:12]
	v_mul_f64 v[77:78], v[13:14], v[11:12]
	s_waitcnt lgkmcnt(6)
	v_mul_f64 v[79:80], v[51:52], v[11:12]
	v_mul_f64 v[81:82], v[49:50], v[11:12]
	s_waitcnt lgkmcnt(5)
	;; [unrolled: 3-line block ×6, first 2 shown]
	v_mul_f64 v[99:100], v[71:72], v[11:12]
	v_mul_f64 v[11:12], v[69:70], v[11:12]
	v_fma_f64 v[17:18], v[13:14], v[9:10], -v[17:18]
	v_fma_f64 v[77:78], v[15:16], v[9:10], v[77:78]
	v_fma_f64 v[79:80], v[49:50], v[9:10], -v[79:80]
	v_fma_f64 v[81:82], v[51:52], v[9:10], v[81:82]
	;; [unrolled: 2-line block ×7, first 2 shown]
	ds_load_b128 v[9:12], v45
	ds_load_b128 v[13:16], v48
	;; [unrolled: 1-line block ×6, first 2 shown]
	s_waitcnt lgkmcnt(0)
	s_barrier
	buffer_gl0_inv
	v_add_f64 v[65:66], v[73:74], -v[17:18]
	v_add_f64 v[67:68], v[75:76], -v[77:78]
	;; [unrolled: 1-line block ×14, first 2 shown]
	v_and_or_b32 v17, 0x78, v0, v19
	v_and_or_b32 v18, 0xf8, v1, v19
	;; [unrolled: 1-line block ×7, first 2 shown]
	v_lshlrev_b32_e32 v101, 4, v103
	v_lshl_add_u32 v17, v17, 4, 0
	v_lshl_add_u32 v18, v18, 4, 0
	;; [unrolled: 1-line block ×7, first 2 shown]
	v_and_or_b32 v0, 0x70, v0, v103
	v_and_or_b32 v1, 0xf0, v1, v103
	;; [unrolled: 1-line block ×7, first 2 shown]
	v_lshl_add_u32 v0, v0, 4, 0
	v_lshl_add_u32 v1, v1, 4, 0
	v_fma_f64 v[73:74], v[73:74], 2.0, -v[65:66]
	v_fma_f64 v[75:76], v[75:76], 2.0, -v[67:68]
	;; [unrolled: 1-line block ×14, first 2 shown]
	v_lshl_add_u32 v2, v2, 4, 0
	v_lshl_add_u32 v3, v3, 4, 0
	;; [unrolled: 1-line block ×5, first 2 shown]
	ds_store_b128 v17, v[65:68] offset:64
	ds_store_b128 v17, v[73:76]
	ds_store_b128 v18, v[9:12]
	ds_store_b128 v18, v[69:72] offset:64
	ds_store_b128 v97, v[13:16]
	ds_store_b128 v97, v[77:80] offset:64
	ds_store_b128 v98, v[49:52]
	ds_store_b128 v98, v[81:84] offset:64
	ds_store_b128 v99, v[53:56]
	ds_store_b128 v99, v[85:88] offset:64
	ds_store_b128 v100, v[57:60]
	ds_store_b128 v100, v[89:92] offset:64
	ds_store_b128 v19, v[61:64]
	ds_store_b128 v19, v[93:96] offset:64
	s_waitcnt lgkmcnt(0)
	s_barrier
	buffer_gl0_inv
	global_load_b128 v[9:12], v101, s[8:9] offset:96
	ds_load_b128 v[13:16], v34 offset:6272
	ds_load_b128 v[49:52], v34 offset:7168
	;; [unrolled: 1-line block ×7, first 2 shown]
	ds_load_b128 v[73:76], v34
	s_waitcnt vmcnt(0) lgkmcnt(7)
	v_mul_f64 v[17:18], v[15:16], v[11:12]
	v_mul_f64 v[77:78], v[13:14], v[11:12]
	s_waitcnt lgkmcnt(6)
	v_mul_f64 v[79:80], v[51:52], v[11:12]
	v_mul_f64 v[81:82], v[49:50], v[11:12]
	s_waitcnt lgkmcnt(5)
	;; [unrolled: 3-line block ×6, first 2 shown]
	v_mul_f64 v[99:100], v[71:72], v[11:12]
	v_mul_f64 v[11:12], v[69:70], v[11:12]
	v_fma_f64 v[17:18], v[13:14], v[9:10], -v[17:18]
	v_fma_f64 v[77:78], v[15:16], v[9:10], v[77:78]
	v_fma_f64 v[79:80], v[49:50], v[9:10], -v[79:80]
	v_fma_f64 v[81:82], v[51:52], v[9:10], v[81:82]
	;; [unrolled: 2-line block ×7, first 2 shown]
	ds_load_b128 v[9:12], v45
	ds_load_b128 v[13:16], v48
	;; [unrolled: 1-line block ×6, first 2 shown]
	s_waitcnt lgkmcnt(0)
	s_barrier
	buffer_gl0_inv
	v_add_f64 v[65:66], v[73:74], -v[17:18]
	v_add_f64 v[67:68], v[75:76], -v[77:78]
	;; [unrolled: 1-line block ×14, first 2 shown]
	v_fma_f64 v[73:74], v[73:74], 2.0, -v[65:66]
	v_fma_f64 v[75:76], v[75:76], 2.0, -v[67:68]
	;; [unrolled: 1-line block ×14, first 2 shown]
	v_and_b32_e32 v49, 15, v22
	ds_store_b128 v0, v[65:68] offset:128
	ds_store_b128 v0, v[73:76]
	ds_store_b128 v1, v[7:10]
	ds_store_b128 v1, v[69:72] offset:128
	ds_store_b128 v2, v[11:14]
	ds_store_b128 v2, v[77:80] offset:128
	;; [unrolled: 2-line block ×6, first 2 shown]
	v_mul_u32_u24_e32 v19, 6, v49
	s_waitcnt lgkmcnt(0)
	s_barrier
	buffer_gl0_inv
	v_and_b32_e32 v50, 15, v26
	v_lshlrev_b32_e32 v97, 4, v19
	s_clause 0x4
	global_load_b128 v[8:11], v97, s[8:9] offset:224
	global_load_b128 v[4:7], v97, s[8:9] offset:240
	;; [unrolled: 1-line block ×5, first 2 shown]
	v_mul_u32_u24_e32 v51, 6, v50
	s_delay_alu instid0(VALU_DEP_1)
	v_lshlrev_b32_e32 v75, 4, v51
	s_clause 0x6
	global_load_b128 v[51:54], v75, s[8:9] offset:224
	global_load_b128 v[55:58], v75, s[8:9] offset:240
	;; [unrolled: 1-line block ×7, first 2 shown]
	ds_load_b128 v[79:82], v48
	ds_load_b128 v[83:86], v46
	;; [unrolled: 1-line block ×4, first 2 shown]
	ds_load_b128 v[95:98], v34 offset:8960
	s_waitcnt vmcnt(11) lgkmcnt(4)
	v_mul_f64 v[99:100], v[81:82], v[10:11]
	v_mul_f64 v[10:11], v[79:80], v[10:11]
	s_waitcnt vmcnt(10) lgkmcnt(3)
	v_mul_f64 v[101:102], v[85:86], v[6:7]
	v_mul_f64 v[103:104], v[83:84], v[6:7]
	;; [unrolled: 3-line block ×3, first 2 shown]
	v_fma_f64 v[99:100], v[79:80], v[8:9], -v[99:100]
	v_fma_f64 v[109:110], v[81:82], v[8:9], v[10:11]
	ds_load_b128 v[6:9], v34 offset:10752
	ds_load_b128 v[79:82], v34 offset:9856
	s_waitcnt vmcnt(8) lgkmcnt(2)
	v_mul_f64 v[10:11], v[97:98], v[14:15]
	v_mul_f64 v[14:15], v[95:96], v[14:15]
	v_fma_f64 v[101:102], v[83:84], v[4:5], -v[101:102]
	v_fma_f64 v[103:104], v[85:86], v[4:5], v[103:104]
	ds_load_b128 v[83:86], v34 offset:2688
	v_fma_f64 v[91:92], v[91:92], v[0:1], -v[105:106]
	v_fma_f64 v[0:1], v[93:94], v[0:1], v[107:108]
	ds_load_b128 v[2:5], v34 offset:11648
	s_waitcnt vmcnt(7) lgkmcnt(3)
	v_mul_f64 v[111:112], v[8:9], v[18:19]
	v_mul_f64 v[18:19], v[6:7], v[18:19]
	v_fma_f64 v[93:94], v[95:96], v[12:13], -v[10:11]
	v_fma_f64 v[95:96], v[97:98], v[12:13], v[14:15]
	ds_load_b128 v[10:13], v34
	s_waitcnt vmcnt(6) lgkmcnt(2)
	v_mul_f64 v[97:98], v[85:86], v[53:54]
	v_mul_f64 v[53:54], v[83:84], v[53:54]
	v_fma_f64 v[105:106], v[6:7], v[16:17], -v[111:112]
	v_fma_f64 v[18:19], v[8:9], v[16:17], v[18:19]
	ds_load_b128 v[6:9], v34 offset:4480
	ds_load_b128 v[14:17], v34 offset:6272
	s_waitcnt vmcnt(5) lgkmcnt(1)
	v_mul_f64 v[107:108], v[8:9], v[57:58]
	v_fma_f64 v[83:84], v[83:84], v[51:52], -v[97:98]
	v_fma_f64 v[85:86], v[85:86], v[51:52], v[53:54]
	v_mul_f64 v[51:52], v[6:7], v[57:58]
	s_waitcnt vmcnt(4)
	v_mul_f64 v[53:54], v[81:82], v[61:62]
	v_mul_f64 v[57:58], v[79:80], v[61:62]
	s_waitcnt vmcnt(3)
	v_mul_f64 v[61:62], v[4:5], v[65:66]
	v_mul_f64 v[65:66], v[2:3], v[65:66]
	v_fma_f64 v[97:98], v[6:7], v[55:56], -v[107:108]
	v_fma_f64 v[55:56], v[8:9], v[55:56], v[51:52]
	ds_load_b128 v[6:9], v34 offset:7168
	v_fma_f64 v[79:80], v[79:80], v[59:60], -v[53:54]
	ds_load_b128 v[51:54], v34 offset:8064
	v_fma_f64 v[57:58], v[81:82], v[59:60], v[57:58]
	s_waitcnt vmcnt(1) lgkmcnt(2)
	v_mul_f64 v[81:82], v[16:17], v[73:74]
	v_fma_f64 v[2:3], v[2:3], v[63:64], -v[61:62]
	v_fma_f64 v[4:5], v[4:5], v[63:64], v[65:66]
	v_mul_f64 v[63:64], v[14:15], v[73:74]
	s_waitcnt vmcnt(0) lgkmcnt(0)
	s_barrier
	buffer_gl0_inv
	v_mul_f64 v[59:60], v[8:9], v[69:70]
	v_mul_f64 v[69:70], v[6:7], v[69:70]
	;; [unrolled: 1-line block ×4, first 2 shown]
	v_add_f64 v[73:74], v[55:56], v[57:58]
	v_fma_f64 v[14:15], v[14:15], v[71:72], -v[81:82]
	v_add_f64 v[81:82], v[99:100], -v[105:106]
	v_add_f64 v[55:56], v[55:56], -v[57:58]
	v_fma_f64 v[16:17], v[16:17], v[71:72], v[63:64]
	v_add_f64 v[63:64], v[109:110], v[18:19]
	v_add_f64 v[71:72], v[85:86], v[4:5]
	v_add_f64 v[18:19], v[109:110], -v[18:19]
	v_add_f64 v[4:5], v[85:86], -v[4:5]
	v_fma_f64 v[6:7], v[6:7], v[67:68], -v[59:60]
	v_fma_f64 v[8:9], v[8:9], v[67:68], v[69:70]
	v_fma_f64 v[51:52], v[51:52], v[75:76], -v[61:62]
	v_fma_f64 v[53:54], v[53:54], v[75:76], v[65:66]
	v_add_f64 v[59:60], v[99:100], v[105:106]
	v_add_f64 v[61:62], v[101:102], v[93:94]
	;; [unrolled: 1-line block ×5, first 2 shown]
	v_add_f64 v[75:76], v[101:102], -v[93:94]
	v_add_f64 v[93:94], v[103:104], -v[95:96]
	;; [unrolled: 1-line block ×4, first 2 shown]
	v_add_f64 v[97:98], v[73:74], v[71:72]
	v_add_f64 v[111:112], v[73:74], -v[71:72]
	v_add_f64 v[77:78], v[6:7], -v[91:92]
	;; [unrolled: 1-line block ×3, first 2 shown]
	v_add_f64 v[6:7], v[91:92], v[6:7]
	v_add_f64 v[0:1], v[0:1], v[8:9]
	;; [unrolled: 1-line block ×3, first 2 shown]
	v_add_f64 v[14:15], v[51:52], -v[14:15]
	v_add_f64 v[51:52], v[16:17], v[53:54]
	v_add_f64 v[57:58], v[61:62], v[59:60]
	v_add_f64 v[16:17], v[53:54], -v[16:17]
	v_add_f64 v[53:54], v[65:66], v[63:64]
	v_add_f64 v[91:92], v[69:70], v[67:68]
	v_add_f64 v[85:86], v[75:76], -v[81:82]
	v_add_f64 v[101:102], v[93:94], -v[18:19]
	;; [unrolled: 1-line block ×4, first 2 shown]
	v_add_f64 v[75:76], v[77:78], v[75:76]
	v_add_f64 v[99:100], v[95:96], -v[93:94]
	v_add_f64 v[105:106], v[59:60], -v[6:7]
	v_add_f64 v[93:94], v[95:96], v[93:94]
	v_add_f64 v[103:104], v[6:7], -v[61:62]
	v_add_f64 v[59:60], v[61:62], -v[59:60]
	;; [unrolled: 1-line block ×6, first 2 shown]
	v_add_f64 v[109:110], v[14:15], v[79:80]
	v_add_f64 v[67:68], v[67:68], -v[8:9]
	v_add_f64 v[57:58], v[6:7], v[57:58]
	v_add_f64 v[53:54], v[0:1], v[53:54]
	;; [unrolled: 1-line block ×3, first 2 shown]
	v_add_f64 v[91:92], v[18:19], -v[95:96]
	v_add_f64 v[95:96], v[14:15], -v[79:80]
	;; [unrolled: 1-line block ×4, first 2 shown]
	v_add_f64 v[6:7], v[16:17], v[55:56]
	v_add_f64 v[77:78], v[81:82], -v[77:78]
	v_add_f64 v[51:52], v[51:52], v[97:98]
	v_add_f64 v[79:80], v[79:80], -v[2:3]
	v_add_f64 v[97:98], v[16:17], -v[55:56]
	;; [unrolled: 1-line block ×3, first 2 shown]
	v_mul_f64 v[113:114], v[85:86], s[4:5]
	v_add_f64 v[14:15], v[2:3], -v[14:15]
	v_add_f64 v[16:17], v[4:5], -v[16:17]
	v_mul_f64 v[83:84], v[83:84], s[20:21]
	v_add_f64 v[75:76], v[75:76], v[81:82]
	v_mul_f64 v[81:82], v[99:100], s[20:21]
	v_mul_f64 v[99:100], v[101:102], s[4:5]
	;; [unrolled: 1-line block ×3, first 2 shown]
	v_add_f64 v[18:19], v[93:94], v[18:19]
	v_mul_f64 v[93:94], v[103:104], s[10:11]
	v_add_f64 v[109:110], v[109:110], v[2:3]
	v_mul_f64 v[67:68], v[67:68], s[22:23]
	v_add_f64 v[0:1], v[10:11], v[57:58]
	v_add_f64 v[2:3], v[12:13], v[53:54]
	v_mul_f64 v[10:11], v[65:66], s[10:11]
	v_mul_f64 v[12:13], v[63:64], s[22:23]
	;; [unrolled: 1-line block ×4, first 2 shown]
	v_add_f64 v[115:116], v[6:7], v[4:5]
	v_add_f64 v[4:5], v[87:88], v[8:9]
	;; [unrolled: 1-line block ×3, first 2 shown]
	v_mul_f64 v[87:88], v[79:80], s[4:5]
	v_mul_f64 v[89:90], v[97:98], s[20:21]
	v_fma_f64 v[95:96], v[77:78], s[16:17], -v[113:114]
	v_fma_f64 v[85:86], v[85:86], s[4:5], -v[83:84]
	v_fma_f64 v[77:78], v[77:78], s[14:15], v[83:84]
	v_mul_f64 v[83:84], v[55:56], s[4:5]
	v_fma_f64 v[97:98], v[101:102], s[4:5], -v[81:82]
	v_fma_f64 v[99:100], v[91:92], s[16:17], -v[99:100]
	v_fma_f64 v[81:82], v[91:92], s[14:15], v[81:82]
	v_mul_f64 v[91:92], v[69:70], s[10:11]
	v_fma_f64 v[101:102], v[103:104], s[10:11], v[105:106]
	v_mul_f64 v[103:104], v[73:74], s[10:11]
	v_fma_f64 v[93:94], v[59:60], s[18:19], -v[93:94]
	v_fma_f64 v[59:60], v[59:60], s[12:13], -v[105:106]
	v_fma_f64 v[57:58], v[57:58], s[26:27], v[0:1]
	v_fma_f64 v[53:54], v[53:54], s[26:27], v[2:3]
	v_fma_f64 v[10:11], v[61:62], s[18:19], -v[10:11]
	v_fma_f64 v[61:62], v[61:62], s[12:13], -v[12:13]
	v_fma_f64 v[12:13], v[65:66], s[10:11], v[12:13]
	v_fma_f64 v[65:66], v[79:80], s[4:5], -v[63:64]
	v_fma_f64 v[8:9], v[8:9], s[26:27], v[4:5]
	v_fma_f64 v[51:52], v[51:52], s[26:27], v[6:7]
	v_fma_f64 v[79:80], v[14:15], s[16:17], -v[87:88]
	v_fma_f64 v[14:15], v[14:15], s[14:15], v[63:64]
	v_fma_f64 v[63:64], v[107:108], s[12:13], -v[67:68]
	v_fma_f64 v[67:68], v[69:70], s[10:11], v[67:68]
	v_fma_f64 v[69:70], v[73:74], s[10:11], v[71:72]
	v_fma_f64 v[71:72], v[111:112], s[12:13], -v[71:72]
	v_fma_f64 v[55:56], v[55:56], s[4:5], -v[89:90]
	v_fma_f64 v[73:74], v[75:76], s[24:25], v[85:86]
	v_fma_f64 v[83:84], v[16:17], s[16:17], -v[83:84]
	v_fma_f64 v[16:17], v[16:17], s[14:15], v[89:90]
	v_fma_f64 v[89:90], v[75:76], s[24:25], v[95:96]
	;; [unrolled: 1-line block ×3, first 2 shown]
	v_fma_f64 v[87:88], v[107:108], s[18:19], -v[91:92]
	v_fma_f64 v[77:78], v[18:19], s[24:25], v[81:82]
	v_fma_f64 v[91:92], v[111:112], s[18:19], -v[103:104]
	v_fma_f64 v[95:96], v[18:19], s[24:25], v[99:100]
	v_fma_f64 v[85:86], v[18:19], s[24:25], v[97:98]
	v_add_f64 v[59:60], v[59:60], v[57:58]
	v_add_f64 v[93:94], v[93:94], v[57:58]
	;; [unrolled: 1-line block ×4, first 2 shown]
	v_fma_f64 v[81:82], v[109:110], s[24:25], v[65:66]
	v_add_f64 v[65:66], v[101:102], v[57:58]
	v_add_f64 v[101:102], v[12:13], v[53:54]
	v_fma_f64 v[103:104], v[109:110], s[24:25], v[79:80]
	v_add_f64 v[107:108], v[63:64], v[8:9]
	v_add_f64 v[111:112], v[69:70], v[51:52]
	;; [unrolled: 1-line block ×3, first 2 shown]
	v_fma_f64 v[99:100], v[115:116], s[24:25], v[55:56]
	v_fma_f64 v[79:80], v[115:116], s[24:25], v[83:84]
	;; [unrolled: 1-line block ×3, first 2 shown]
	v_add_f64 v[83:84], v[87:88], v[8:9]
	v_add_f64 v[87:88], v[91:92], v[51:52]
	v_fma_f64 v[91:92], v[109:110], s[24:25], v[14:15]
	v_add_f64 v[109:110], v[67:68], v[8:9]
	v_add_f64 v[16:17], v[95:96], v[59:60]
	v_add_f64 v[8:9], v[93:94], -v[85:86]
	v_add_f64 v[10:11], v[73:74], v[97:98]
	v_add_f64 v[18:19], v[61:62], -v[89:90]
	v_add_f64 v[12:13], v[85:86], v[93:94]
	v_add_f64 v[14:15], v[97:98], -v[73:74]
	v_add_f64 v[55:56], v[77:78], v[65:66]
	v_add_f64 v[57:58], v[101:102], -v[75:76]
	v_add_f64 v[51:52], v[59:60], -v[95:96]
	v_add_f64 v[53:54], v[89:90], v[61:62]
	v_add_f64 v[59:60], v[65:66], -v[77:78]
	v_add_f64 v[61:62], v[75:76], v[101:102]
	v_mul_u32_u24_e32 v89, 6, v22
	v_add_f64 v[73:74], v[113:114], -v[103:104]
	v_add_f64 v[71:72], v[79:80], v[107:108]
	v_add_f64 v[79:80], v[107:108], -v[79:80]
	v_add_f64 v[63:64], v[83:84], -v[99:100]
	v_add_f64 v[67:68], v[99:100], v[83:84]
	v_add_f64 v[65:66], v[81:82], v[87:88]
	v_add_f64 v[77:78], v[111:112], -v[91:92]
	v_add_f64 v[75:76], v[105:106], v[109:110]
	v_add_f64 v[69:70], v[87:88], -v[81:82]
	;; [unrolled: 2-line block ×3, first 2 shown]
	v_add_f64 v[85:86], v[91:92], v[111:112]
	v_lshrrev_b32_e32 v88, 4, v22
	v_lshrrev_b32_e32 v87, 4, v26
	s_delay_alu instid0(VALU_DEP_2) | instskip(NEXT) | instid1(VALU_DEP_2)
	v_mul_u32_u24_e32 v88, 0x70, v88
	v_mul_lo_u32 v87, 0x70, v87
	s_delay_alu instid0(VALU_DEP_2) | instskip(NEXT) | instid1(VALU_DEP_2)
	v_or_b32_e32 v49, v88, v49
	v_or_b32_e32 v50, v87, v50
	v_lshlrev_b32_e32 v87, 4, v89
	s_delay_alu instid0(VALU_DEP_3) | instskip(NEXT) | instid1(VALU_DEP_3)
	v_lshl_add_u32 v49, v49, 4, 0
	v_lshl_add_u32 v50, v50, 4, 0
	ds_store_b128 v49, v[0:3]
	ds_store_b128 v49, v[55:58] offset:256
	ds_store_b128 v49, v[16:19] offset:512
	;; [unrolled: 1-line block ×6, first 2 shown]
	ds_store_b128 v50, v[4:7]
	ds_store_b128 v50, v[75:78] offset:256
	ds_store_b128 v50, v[71:74] offset:512
	;; [unrolled: 1-line block ×6, first 2 shown]
	s_waitcnt lgkmcnt(0)
	s_barrier
	buffer_gl0_inv
	s_clause 0x3
	global_load_b128 v[3:6], v87, s[8:9] offset:1760
	global_load_b128 v[7:10], v87, s[8:9] offset:1776
	;; [unrolled: 1-line block ×4, first 2 shown]
	v_mul_i32_i24_e32 v1, 6, v26
	v_mov_b32_e32 v2, 0
	global_load_b128 v[49:52], v87, s[8:9] offset:1840
	v_lshlrev_b64 v[0:1], 4, v[1:2]
	s_delay_alu instid0(VALU_DEP_1) | instskip(NEXT) | instid1(VALU_DEP_1)
	v_add_co_u32 v0, s0, s8, v0
	v_add_co_ci_u32_e64 v1, s0, s9, v1, s0
	s_clause 0x6
	global_load_b128 v[53:56], v[0:1], off offset:1760
	global_load_b128 v[57:60], v[0:1], off offset:1776
	global_load_b128 v[61:64], v[0:1], off offset:1824
	global_load_b128 v[65:68], v[0:1], off offset:1840
	global_load_b128 v[69:72], v87, s[8:9] offset:1808
	global_load_b128 v[73:76], v[0:1], off offset:1792
	global_load_b128 v[77:80], v[0:1], off offset:1808
	ds_load_b128 v[81:84], v48
	ds_load_b128 v[85:88], v45
	;; [unrolled: 1-line block ×4, first 2 shown]
	ds_load_b128 v[97:100], v34 offset:8960
	ds_load_b128 v[101:104], v34 offset:9856
	s_waitcnt vmcnt(11) lgkmcnt(5)
	v_mul_f64 v[0:1], v[83:84], v[5:6]
	v_mul_f64 v[5:6], v[81:82], v[5:6]
	s_waitcnt vmcnt(8) lgkmcnt(1)
	v_mul_f64 v[109:110], v[99:100], v[17:18]
	v_mul_f64 v[17:18], v[97:98], v[17:18]
	s_delay_alu instid0(VALU_DEP_4) | instskip(NEXT) | instid1(VALU_DEP_4)
	v_fma_f64 v[0:1], v[81:82], v[3:4], -v[0:1]
	v_fma_f64 v[107:108], v[83:84], v[3:4], v[5:6]
	ds_load_b128 v[3:6], v34 offset:10752
	v_mul_f64 v[46:47], v[91:92], v[9:10]
	v_mul_f64 v[9:10], v[89:90], v[9:10]
	;; [unrolled: 1-line block ×4, first 2 shown]
	v_fma_f64 v[97:98], v[97:98], v[15:16], -v[109:110]
	v_fma_f64 v[99:100], v[99:100], v[15:16], v[17:18]
	v_fma_f64 v[46:47], v[89:90], v[7:8], -v[46:47]
	v_fma_f64 v[89:90], v[91:92], v[7:8], v[9:10]
	ds_load_b128 v[7:10], v34 offset:2688
	ds_load_b128 v[81:84], v34 offset:11648
	v_fma_f64 v[91:92], v[93:94], v[11:12], -v[105:106]
	v_fma_f64 v[93:94], v[95:96], v[11:12], v[13:14]
	s_waitcnt vmcnt(7) lgkmcnt(2)
	v_mul_f64 v[95:96], v[5:6], v[51:52]
	v_mul_f64 v[51:52], v[3:4], v[51:52]
	ds_load_b128 v[11:14], v34
	ds_load_b128 v[15:18], v34 offset:4480
	s_waitcnt vmcnt(6) lgkmcnt(3)
	v_mul_f64 v[105:106], v[9:10], v[55:56]
	v_mul_f64 v[55:56], v[7:8], v[55:56]
	v_fma_f64 v[95:96], v[3:4], v[49:50], -v[95:96]
	v_fma_f64 v[48:49], v[5:6], v[49:50], v[51:52]
	s_waitcnt vmcnt(5) lgkmcnt(0)
	v_mul_f64 v[50:51], v[17:18], v[59:60]
	v_mul_f64 v[59:60], v[15:16], v[59:60]
	ds_load_b128 v[3:6], v34 offset:6272
	v_fma_f64 v[105:106], v[7:8], v[53:54], -v[105:106]
	v_fma_f64 v[52:53], v[9:10], v[53:54], v[55:56]
	ds_load_b128 v[7:10], v34 offset:7168
	s_waitcnt vmcnt(4)
	v_mul_f64 v[54:55], v[103:104], v[63:64]
	v_mul_f64 v[63:64], v[101:102], v[63:64]
	v_fma_f64 v[50:51], v[15:16], v[57:58], -v[50:51]
	v_fma_f64 v[56:57], v[17:18], v[57:58], v[59:60]
	s_waitcnt vmcnt(3)
	v_mul_f64 v[58:59], v[83:84], v[67:68]
	v_mul_f64 v[67:68], v[81:82], v[67:68]
	ds_load_b128 v[15:18], v34 offset:8064
	s_waitcnt vmcnt(0) lgkmcnt(0)
	s_barrier
	buffer_gl0_inv
	v_fma_f64 v[54:55], v[101:102], v[61:62], -v[54:55]
	v_fma_f64 v[60:61], v[103:104], v[61:62], v[63:64]
	v_mul_f64 v[62:63], v[9:10], v[71:72]
	v_mul_f64 v[71:72], v[7:8], v[71:72]
	v_mul_f64 v[101:102], v[5:6], v[75:76]
	v_mul_f64 v[103:104], v[17:18], v[79:80]
	v_fma_f64 v[58:59], v[81:82], v[65:66], -v[58:59]
	v_fma_f64 v[64:65], v[83:84], v[65:66], v[67:68]
	v_mul_f64 v[66:67], v[3:4], v[75:76]
	v_mul_f64 v[75:76], v[15:16], v[79:80]
	v_add_f64 v[82:83], v[89:90], -v[99:100]
	v_fma_f64 v[7:8], v[7:8], v[69:70], -v[62:63]
	v_fma_f64 v[9:10], v[9:10], v[69:70], v[71:72]
	v_fma_f64 v[3:4], v[3:4], v[73:74], -v[101:102]
	v_add_f64 v[62:63], v[0:1], v[95:96]
	v_add_f64 v[68:69], v[107:108], v[48:49]
	v_fma_f64 v[15:16], v[15:16], v[77:78], -v[103:104]
	v_add_f64 v[70:71], v[89:90], v[99:100]
	v_add_f64 v[0:1], v[0:1], -v[95:96]
	v_add_f64 v[48:49], v[107:108], -v[48:49]
	v_fma_f64 v[5:6], v[5:6], v[73:74], v[66:67]
	v_add_f64 v[66:67], v[46:47], v[97:98]
	v_fma_f64 v[17:18], v[17:18], v[77:78], v[75:76]
	v_add_f64 v[72:73], v[105:106], v[58:59]
	v_add_f64 v[74:75], v[50:51], v[54:55]
	;; [unrolled: 1-line block ×4, first 2 shown]
	v_add_f64 v[46:47], v[46:47], -v[97:98]
	v_add_f64 v[50:51], v[50:51], -v[54:55]
	;; [unrolled: 1-line block ×5, first 2 shown]
	v_add_f64 v[80:81], v[91:92], v[7:8]
	v_add_f64 v[7:8], v[7:8], -v[91:92]
	v_add_f64 v[89:90], v[9:10], -v[93:94]
	v_add_f64 v[9:10], v[93:94], v[9:10]
	v_add_f64 v[91:92], v[3:4], v[15:16]
	v_add_f64 v[3:4], v[15:16], -v[3:4]
	v_add_f64 v[60:61], v[70:71], v[68:69]
	v_add_f64 v[56:57], v[66:67], v[62:63]
	;; [unrolled: 3-line block ×3, first 2 shown]
	v_add_f64 v[93:94], v[78:79], v[76:77]
	v_add_f64 v[101:102], v[46:47], -v[0:1]
	v_add_f64 v[95:96], v[62:63], -v[80:81]
	;; [unrolled: 1-line block ×4, first 2 shown]
	v_add_f64 v[46:47], v[7:8], v[46:47]
	v_add_f64 v[64:65], v[89:90], v[82:83]
	v_add_f64 v[103:104], v[68:69], -v[9:10]
	v_add_f64 v[105:106], v[9:10], -v[70:71]
	v_add_f64 v[62:63], v[66:67], -v[62:63]
	v_add_f64 v[66:67], v[70:71], -v[68:69]
	v_add_f64 v[68:69], v[74:75], -v[72:73]
	v_add_f64 v[70:71], v[72:73], -v[91:92]
	v_add_f64 v[72:73], v[91:92], -v[74:75]
	v_add_f64 v[74:75], v[3:4], v[50:51]
	v_add_f64 v[109:110], v[89:90], -v[82:83]
	v_add_f64 v[82:83], v[82:83], -v[48:49]
	v_add_f64 v[60:61], v[9:10], v[60:61]
	v_add_f64 v[9:10], v[3:4], -v[50:51]
	v_add_f64 v[50:51], v[50:51], -v[58:59]
	v_add_f64 v[113:114], v[0:1], -v[7:8]
	v_add_f64 v[89:90], v[48:49], -v[89:90]
	v_add_f64 v[117:118], v[58:59], -v[3:4]
	v_add_f64 v[56:57], v[80:81], v[56:57]
	v_add_f64 v[107:108], v[15:16], v[54:55]
	;; [unrolled: 1-line block ×3, first 2 shown]
	v_add_f64 v[91:92], v[78:79], -v[76:77]
	v_add_f64 v[80:81], v[5:6], v[93:94]
	v_add_f64 v[93:94], v[15:16], -v[54:55]
	v_add_f64 v[76:77], v[76:77], -v[5:6]
	;; [unrolled: 1-line block ×4, first 2 shown]
	v_mul_f64 v[115:116], v[101:102], s[4:5]
	v_add_f64 v[15:16], v[52:53], -v[15:16]
	v_mul_f64 v[95:96], v[95:96], s[22:23]
	v_mul_f64 v[111:112], v[97:98], s[10:11]
	;; [unrolled: 1-line block ×3, first 2 shown]
	v_add_f64 v[0:1], v[46:47], v[0:1]
	v_add_f64 v[46:47], v[64:65], v[48:49]
	v_mul_f64 v[48:49], v[103:104], s[22:23]
	v_mul_f64 v[64:65], v[105:106], s[10:11]
	;; [unrolled: 1-line block ×3, first 2 shown]
	v_add_f64 v[58:59], v[74:75], v[58:59]
	v_mul_f64 v[74:75], v[109:110], s[20:21]
	v_mul_f64 v[103:104], v[82:83], s[4:5]
	v_add_f64 v[5:6], v[13:14], v[60:61]
	v_mul_f64 v[13:14], v[50:51], s[4:5]
	v_add_f64 v[3:4], v[11:12], v[56:57]
	;; [unrolled: 2-line block ×3, first 2 shown]
	v_add_f64 v[7:8], v[85:86], v[17:18]
	v_mul_f64 v[84:85], v[72:73], s[10:11]
	v_add_f64 v[9:10], v[87:88], v[80:81]
	v_mul_f64 v[86:87], v[93:94], s[20:21]
	v_mul_f64 v[76:77], v[76:77], s[22:23]
	;; [unrolled: 1-line block ×3, first 2 shown]
	v_fma_f64 v[107:108], v[113:114], s[16:17], -v[115:116]
	v_fma_f64 v[93:94], v[97:98], s[10:11], v[95:96]
	v_fma_f64 v[97:98], v[62:63], s[18:19], -v[111:112]
	v_fma_f64 v[62:63], v[62:63], s[12:13], -v[95:96]
	v_mul_f64 v[95:96], v[78:79], s[10:11]
	v_fma_f64 v[101:102], v[101:102], s[4:5], -v[99:100]
	v_fma_f64 v[99:100], v[113:114], s[14:15], v[99:100]
	v_fma_f64 v[64:65], v[66:67], s[18:19], -v[64:65]
	v_fma_f64 v[82:83], v[82:83], s[4:5], -v[74:75]
	v_fma_f64 v[74:75], v[89:90], s[14:15], v[74:75]
	v_fma_f64 v[60:61], v[60:61], s[26:27], v[5:6]
	v_fma_f64 v[88:89], v[89:90], s[16:17], -v[103:104]
	v_fma_f64 v[103:104], v[105:106], s[10:11], v[48:49]
	v_fma_f64 v[48:49], v[66:67], s[12:13], -v[48:49]
	v_fma_f64 v[13:14], v[117:118], s[16:17], -v[13:14]
	v_fma_f64 v[56:57], v[56:57], s[26:27], v[3:4]
	v_fma_f64 v[66:67], v[117:118], s[14:15], v[11:12]
	v_fma_f64 v[11:12], v[50:51], s[4:5], -v[11:12]
	v_fma_f64 v[17:18], v[17:18], s[26:27], v[7:8]
	v_fma_f64 v[50:51], v[68:69], s[18:19], -v[84:85]
	;; [unrolled: 2-line block ×4, first 2 shown]
	v_fma_f64 v[70:71], v[72:73], s[10:11], v[70:71]
	v_fma_f64 v[72:73], v[78:79], s[10:11], v[76:77]
	v_fma_f64 v[15:16], v[15:16], s[16:17], -v[109:110]
	v_fma_f64 v[76:77], v[91:92], s[12:13], -v[76:77]
	s_addc_u32 s4, s9, 0
	s_mov_b32 s5, exec_lo
	v_fma_f64 v[84:85], v[91:92], s[18:19], -v[95:96]
	v_fma_f64 v[90:91], v[0:1], s[24:25], v[101:102]
	v_fma_f64 v[78:79], v[0:1], s[24:25], v[99:100]
	;; [unrolled: 1-line block ×5, first 2 shown]
	v_add_f64 v[64:65], v[64:65], v[60:61]
	v_fma_f64 v[88:89], v[46:47], s[24:25], v[88:89]
	v_add_f64 v[95:96], v[97:98], v[56:57]
	v_add_f64 v[97:98], v[48:49], v[60:61]
	v_fma_f64 v[99:100], v[58:59], s[24:25], v[66:67]
	v_add_f64 v[66:67], v[93:94], v[56:57]
	v_add_f64 v[60:61], v[103:104], v[60:61]
	;; [unrolled: 1-line block ×3, first 2 shown]
	v_fma_f64 v[92:93], v[58:59], s[24:25], v[13:14]
	v_fma_f64 v[86:87], v[52:53], s[24:25], v[86:87]
	v_add_f64 v[109:110], v[68:69], v[17:18]
	v_add_f64 v[111:112], v[70:71], v[17:18]
	;; [unrolled: 1-line block ×3, first 2 shown]
	v_fma_f64 v[107:108], v[52:53], s[24:25], v[15:16]
	v_fma_f64 v[101:102], v[58:59], s[24:25], v[11:12]
	;; [unrolled: 1-line block ×3, first 2 shown]
	v_add_f64 v[105:106], v[50:51], v[17:18]
	v_add_f64 v[84:85], v[84:85], v[80:81]
	;; [unrolled: 1-line block ×4, first 2 shown]
	v_add_f64 v[17:18], v[64:65], -v[90:91]
	v_add_f64 v[11:12], v[95:96], -v[82:83]
	;; [unrolled: 1-line block ×3, first 2 shown]
	v_add_f64 v[15:16], v[82:83], v[95:96]
	v_add_f64 v[54:55], v[74:75], v[66:67]
	v_add_f64 v[56:57], v[60:61], -v[78:79]
	v_add_f64 v[46:47], v[88:89], v[62:63]
	v_add_f64 v[50:51], v[62:63], -v[88:89]
	;; [unrolled: 2-line block ×3, first 2 shown]
	v_add_f64 v[60:61], v[78:79], v[60:61]
	v_add_f64 v[74:75], v[86:87], v[111:112]
	v_add_f64 v[76:77], v[113:114], -v[99:100]
	v_add_f64 v[70:71], v[107:108], v[109:110]
	v_add_f64 v[78:79], v[109:110], -v[107:108]
	v_add_f64 v[62:63], v[105:106], -v[103:104]
	v_add_f64 v[66:67], v[103:104], v[105:106]
	v_add_f64 v[82:83], v[111:112], -v[86:87]
	v_add_f64 v[64:65], v[101:102], v[84:85]
	v_add_f64 v[72:73], v[80:81], -v[92:93]
	v_add_f64 v[68:69], v[84:85], -v[101:102]
	v_add_f64 v[80:81], v[92:93], v[80:81]
	v_add_f64 v[84:85], v[99:100], v[113:114]
	ds_store_b128 v34, v[3:6]
	ds_store_b128 v34, v[54:57] offset:1792
	ds_store_b128 v34, v[46:49] offset:3584
	ds_store_b128 v34, v[11:14] offset:5376
	ds_store_b128 v34, v[15:18] offset:7168
	ds_store_b128 v34, v[50:53] offset:8960
	ds_store_b128 v34, v[58:61] offset:10752
	ds_store_b128 v45, v[7:10]
	ds_store_b128 v45, v[74:77] offset:1792
	ds_store_b128 v45, v[70:73] offset:3584
	;; [unrolled: 1-line block ×6, first 2 shown]
	s_waitcnt lgkmcnt(0)
	s_barrier
	buffer_gl0_inv
	ds_load_b128 v[4:7], v34
	v_sub_nc_u32_e32 v12, 0, v23
                                        ; implicit-def: $vgpr0_vgpr1
                                        ; implicit-def: $vgpr8_vgpr9
                                        ; implicit-def: $vgpr10_vgpr11
	v_cmpx_ne_u32_e32 0, v22
	s_xor_b32 s5, exec_lo, s5
	s_cbranch_execz .LBB0_15
; %bb.14:
	v_mov_b32_e32 v23, v2
	s_delay_alu instid0(VALU_DEP_1) | instskip(NEXT) | instid1(VALU_DEP_1)
	v_lshlrev_b64 v[0:1], 4, v[22:23]
	v_add_co_u32 v0, s0, s1, v0
	s_delay_alu instid0(VALU_DEP_1)
	v_add_co_ci_u32_e64 v1, s0, s4, v1, s0
	global_load_b128 v[13:16], v[0:1], off
	ds_load_b128 v[0:3], v12 offset:12544
	s_waitcnt lgkmcnt(0)
	v_add_f64 v[8:9], v[4:5], -v[0:1]
	v_add_f64 v[10:11], v[6:7], v[2:3]
	v_add_f64 v[2:3], v[6:7], -v[2:3]
	v_add_f64 v[0:1], v[4:5], v[0:1]
	s_delay_alu instid0(VALU_DEP_4) | instskip(NEXT) | instid1(VALU_DEP_4)
	v_mul_f64 v[6:7], v[8:9], 0.5
	v_mul_f64 v[4:5], v[10:11], 0.5
	s_delay_alu instid0(VALU_DEP_4) | instskip(SKIP_1) | instid1(VALU_DEP_3)
	v_mul_f64 v[2:3], v[2:3], 0.5
	s_waitcnt vmcnt(0)
	v_mul_f64 v[8:9], v[6:7], v[15:16]
	s_delay_alu instid0(VALU_DEP_2) | instskip(SKIP_1) | instid1(VALU_DEP_3)
	v_fma_f64 v[10:11], v[4:5], v[15:16], v[2:3]
	v_fma_f64 v[2:3], v[4:5], v[15:16], -v[2:3]
	v_fma_f64 v[17:18], v[0:1], 0.5, v[8:9]
	v_fma_f64 v[0:1], v[0:1], 0.5, -v[8:9]
	s_delay_alu instid0(VALU_DEP_4) | instskip(NEXT) | instid1(VALU_DEP_4)
	v_fma_f64 v[10:11], -v[13:14], v[6:7], v[10:11]
	v_fma_f64 v[2:3], -v[13:14], v[6:7], v[2:3]
	s_delay_alu instid0(VALU_DEP_4) | instskip(NEXT) | instid1(VALU_DEP_4)
	v_fma_f64 v[8:9], v[4:5], v[13:14], v[17:18]
	v_fma_f64 v[0:1], -v[4:5], v[13:14], v[0:1]
                                        ; implicit-def: $vgpr4_vgpr5
.LBB0_15:
	s_or_saveexec_b32 s0, s5
	v_sub_nc_u32_e32 v18, 0, v27
	v_sub_nc_u32_e32 v17, 0, v33
	;; [unrolled: 1-line block ×6, first 2 shown]
	s_xor_b32 exec_lo, exec_lo, s0
	s_cbranch_execz .LBB0_17
; %bb.16:
	s_waitcnt lgkmcnt(0)
	v_add_f64 v[8:9], v[4:5], v[6:7]
	v_add_f64 v[0:1], v[4:5], -v[6:7]
	v_mov_b32_e32 v6, 0
	v_mov_b32_e32 v10, 0
	;; [unrolled: 1-line block ×3, first 2 shown]
	s_delay_alu instid0(VALU_DEP_2)
	v_mov_b32_e32 v2, v10
	ds_load_b64 v[4:5], v6 offset:6280
	v_mov_b32_e32 v3, v11
	s_waitcnt lgkmcnt(0)
	v_xor_b32_e32 v5, 0x80000000, v5
	ds_store_b64 v6, v[4:5] offset:6280
.LBB0_17:
	s_or_b32 exec_lo, exec_lo, s0
	v_mov_b32_e32 v27, 0
	s_waitcnt lgkmcnt(0)
	s_delay_alu instid0(VALU_DEP_1) | instskip(SKIP_3) | instid1(VALU_DEP_4)
	v_lshlrev_b64 v[4:5], 4, v[26:27]
	v_add_nc_u32_e32 v26, v39, v15
	v_mov_b32_e32 v33, v27
	v_add_nc_u32_e32 v23, v40, v18
	v_add_co_u32 v4, s0, s1, v4
	s_delay_alu instid0(VALU_DEP_1) | instskip(NEXT) | instid1(VALU_DEP_4)
	v_add_co_ci_u32_e64 v5, s0, s4, v5, s0
	v_lshlrev_b64 v[32:33], 4, v[32:33]
	global_load_b128 v[4:7], v[4:5], off
	v_add_co_u32 v32, s0, s1, v32
	s_delay_alu instid0(VALU_DEP_1)
	v_add_co_ci_u32_e64 v33, s0, s4, v33, s0
	global_load_b128 v[41:44], v[32:33], off
	ds_store_2addr_b64 v34, v[8:9], v[10:11] offset1:1
	ds_store_b128 v12, v[0:3] offset:12544
	ds_load_b128 v[0:3], v23
	ds_load_b128 v[8:11], v12 offset:11648
	s_waitcnt lgkmcnt(0)
	v_add_f64 v[18:19], v[0:1], -v[8:9]
	v_add_f64 v[32:33], v[2:3], v[10:11]
	v_add_f64 v[2:3], v[2:3], -v[10:11]
	v_add_f64 v[0:1], v[0:1], v[8:9]
	s_delay_alu instid0(VALU_DEP_4) | instskip(NEXT) | instid1(VALU_DEP_4)
	v_mul_f64 v[10:11], v[18:19], 0.5
	v_mul_f64 v[18:19], v[32:33], 0.5
	s_delay_alu instid0(VALU_DEP_4) | instskip(SKIP_1) | instid1(VALU_DEP_3)
	v_mul_f64 v[2:3], v[2:3], 0.5
	s_waitcnt vmcnt(1)
	v_mul_f64 v[8:9], v[10:11], v[6:7]
	s_delay_alu instid0(VALU_DEP_2) | instskip(SKIP_1) | instid1(VALU_DEP_3)
	v_fma_f64 v[32:33], v[18:19], v[6:7], v[2:3]
	v_fma_f64 v[2:3], v[18:19], v[6:7], -v[2:3]
	v_fma_f64 v[6:7], v[0:1], 0.5, v[8:9]
	v_fma_f64 v[0:1], v[0:1], 0.5, -v[8:9]
	s_delay_alu instid0(VALU_DEP_4) | instskip(NEXT) | instid1(VALU_DEP_4)
	v_fma_f64 v[8:9], -v[4:5], v[10:11], v[32:33]
	v_fma_f64 v[10:11], -v[4:5], v[10:11], v[2:3]
	v_mov_b32_e32 v32, v27
	v_fma_f64 v[6:7], v[18:19], v[4:5], v[6:7]
	v_fma_f64 v[4:5], -v[18:19], v[4:5], v[0:1]
	s_delay_alu instid0(VALU_DEP_3) | instskip(SKIP_1) | instid1(VALU_DEP_2)
	v_lshlrev_b64 v[0:1], 4, v[31:32]
	v_add_nc_u32_e32 v19, v38, v17
	v_add_co_u32 v0, s0, s1, v0
	s_delay_alu instid0(VALU_DEP_1)
	v_add_co_ci_u32_e64 v1, s0, s4, v1, s0
	global_load_b128 v[0:3], v[0:1], off
	ds_store_b64 v23, v[8:9] offset:8
	ds_store_b64 v12, v[10:11] offset:11656
	ds_store_b64 v23, v[6:7]
	ds_store_b64 v12, v[4:5] offset:11648
	ds_load_b128 v[4:7], v19
	ds_load_b128 v[8:11], v12 offset:10752
	v_add_nc_u32_e32 v23, v35, v16
	s_waitcnt lgkmcnt(0)
	v_add_f64 v[17:18], v[4:5], -v[8:9]
	v_add_f64 v[31:32], v[6:7], v[10:11]
	v_add_f64 v[6:7], v[6:7], -v[10:11]
	v_add_f64 v[4:5], v[4:5], v[8:9]
	s_delay_alu instid0(VALU_DEP_4) | instskip(NEXT) | instid1(VALU_DEP_4)
	v_mul_f64 v[10:11], v[17:18], 0.5
	v_mul_f64 v[17:18], v[31:32], 0.5
	s_delay_alu instid0(VALU_DEP_4) | instskip(SKIP_1) | instid1(VALU_DEP_3)
	v_mul_f64 v[6:7], v[6:7], 0.5
	s_waitcnt vmcnt(1)
	v_mul_f64 v[8:9], v[10:11], v[43:44]
	s_delay_alu instid0(VALU_DEP_2) | instskip(SKIP_1) | instid1(VALU_DEP_3)
	v_fma_f64 v[31:32], v[17:18], v[43:44], v[6:7]
	v_fma_f64 v[6:7], v[17:18], v[43:44], -v[6:7]
	v_fma_f64 v[33:34], v[4:5], 0.5, v[8:9]
	v_fma_f64 v[4:5], v[4:5], 0.5, -v[8:9]
	s_delay_alu instid0(VALU_DEP_4) | instskip(NEXT) | instid1(VALU_DEP_4)
	v_fma_f64 v[8:9], -v[41:42], v[10:11], v[31:32]
	v_fma_f64 v[10:11], -v[41:42], v[10:11], v[6:7]
	v_mov_b32_e32 v31, v27
	v_fma_f64 v[32:33], v[17:18], v[41:42], v[33:34]
	v_fma_f64 v[17:18], -v[17:18], v[41:42], v[4:5]
	s_delay_alu instid0(VALU_DEP_3) | instskip(NEXT) | instid1(VALU_DEP_1)
	v_lshlrev_b64 v[4:5], 4, v[30:31]
	v_add_co_u32 v4, s0, s1, v4
	s_delay_alu instid0(VALU_DEP_1)
	v_add_co_ci_u32_e64 v5, s0, s4, v5, s0
	global_load_b128 v[4:7], v[4:5], off
	ds_store_b64 v19, v[8:9] offset:8
	ds_store_b64 v12, v[10:11] offset:10760
	ds_store_b64 v19, v[32:33]
	ds_store_b64 v12, v[17:18] offset:10752
	ds_load_b128 v[8:11], v23
	ds_load_b128 v[16:19], v12 offset:9856
	s_waitcnt lgkmcnt(0)
	v_add_f64 v[30:31], v[8:9], -v[16:17]
	v_add_f64 v[32:33], v[10:11], v[18:19]
	v_add_f64 v[10:11], v[10:11], -v[18:19]
	v_add_f64 v[8:9], v[8:9], v[16:17]
	s_delay_alu instid0(VALU_DEP_4) | instskip(NEXT) | instid1(VALU_DEP_4)
	v_mul_f64 v[18:19], v[30:31], 0.5
	v_mul_f64 v[30:31], v[32:33], 0.5
	s_delay_alu instid0(VALU_DEP_4) | instskip(SKIP_1) | instid1(VALU_DEP_3)
	v_mul_f64 v[10:11], v[10:11], 0.5
	s_waitcnt vmcnt(1)
	v_mul_f64 v[16:17], v[18:19], v[2:3]
	s_delay_alu instid0(VALU_DEP_2) | instskip(SKIP_1) | instid1(VALU_DEP_3)
	v_fma_f64 v[32:33], v[30:31], v[2:3], v[10:11]
	v_fma_f64 v[2:3], v[30:31], v[2:3], -v[10:11]
	v_fma_f64 v[10:11], v[8:9], 0.5, v[16:17]
	v_fma_f64 v[8:9], v[8:9], 0.5, -v[16:17]
	s_delay_alu instid0(VALU_DEP_4) | instskip(NEXT) | instid1(VALU_DEP_4)
	v_fma_f64 v[16:17], -v[0:1], v[18:19], v[32:33]
	v_fma_f64 v[18:19], -v[0:1], v[18:19], v[2:3]
	s_delay_alu instid0(VALU_DEP_4) | instskip(NEXT) | instid1(VALU_DEP_4)
	v_fma_f64 v[10:11], v[30:31], v[0:1], v[10:11]
	v_fma_f64 v[8:9], -v[30:31], v[0:1], v[8:9]
	v_mov_b32_e32 v30, v27
	s_delay_alu instid0(VALU_DEP_1) | instskip(NEXT) | instid1(VALU_DEP_1)
	v_lshlrev_b64 v[0:1], 4, v[29:30]
	v_add_co_u32 v0, s0, s1, v0
	s_delay_alu instid0(VALU_DEP_1)
	v_add_co_ci_u32_e64 v1, s0, s4, v1, s0
	global_load_b128 v[0:3], v[0:1], off
	ds_store_b64 v23, v[16:17] offset:8
	ds_store_b64 v12, v[18:19] offset:9864
	ds_store_b64 v23, v[10:11]
	ds_store_b64 v12, v[8:9] offset:9856
	ds_load_b128 v[8:11], v26
	ds_load_b128 v[15:18], v12 offset:8960
	v_add_nc_u32_e32 v23, v37, v14
	s_waitcnt lgkmcnt(0)
	v_add_f64 v[29:30], v[8:9], -v[15:16]
	v_add_f64 v[31:32], v[10:11], v[17:18]
	v_add_f64 v[10:11], v[10:11], -v[17:18]
	v_add_f64 v[8:9], v[8:9], v[15:16]
	s_delay_alu instid0(VALU_DEP_4) | instskip(NEXT) | instid1(VALU_DEP_4)
	v_mul_f64 v[17:18], v[29:30], 0.5
	v_mul_f64 v[29:30], v[31:32], 0.5
	s_delay_alu instid0(VALU_DEP_4) | instskip(SKIP_1) | instid1(VALU_DEP_3)
	v_mul_f64 v[10:11], v[10:11], 0.5
	s_waitcnt vmcnt(1)
	v_mul_f64 v[15:16], v[17:18], v[6:7]
	s_delay_alu instid0(VALU_DEP_2) | instskip(SKIP_1) | instid1(VALU_DEP_3)
	v_fma_f64 v[31:32], v[29:30], v[6:7], v[10:11]
	v_fma_f64 v[6:7], v[29:30], v[6:7], -v[10:11]
	v_fma_f64 v[10:11], v[8:9], 0.5, v[15:16]
	v_fma_f64 v[8:9], v[8:9], 0.5, -v[15:16]
	s_delay_alu instid0(VALU_DEP_4) | instskip(NEXT) | instid1(VALU_DEP_4)
	v_fma_f64 v[15:16], -v[4:5], v[17:18], v[31:32]
	v_fma_f64 v[17:18], -v[4:5], v[17:18], v[6:7]
	s_delay_alu instid0(VALU_DEP_4) | instskip(NEXT) | instid1(VALU_DEP_4)
	v_fma_f64 v[10:11], v[29:30], v[4:5], v[10:11]
	v_fma_f64 v[8:9], -v[29:30], v[4:5], v[8:9]
	v_mov_b32_e32 v29, v27
	s_delay_alu instid0(VALU_DEP_1) | instskip(NEXT) | instid1(VALU_DEP_1)
	v_lshlrev_b64 v[4:5], 4, v[28:29]
	v_add_co_u32 v4, s0, s1, v4
	s_delay_alu instid0(VALU_DEP_1)
	v_add_co_ci_u32_e64 v5, s0, s4, v5, s0
	global_load_b128 v[4:7], v[4:5], off
	ds_store_b64 v26, v[15:16] offset:8
	ds_store_b64 v12, v[17:18] offset:8968
	ds_store_b64 v26, v[10:11]
	ds_store_b64 v12, v[8:9] offset:8960
	ds_load_b128 v[8:11], v23
	ds_load_b128 v[14:17], v12 offset:8064
	s_waitcnt lgkmcnt(0)
	v_add_f64 v[18:19], v[8:9], -v[14:15]
	v_add_f64 v[28:29], v[10:11], v[16:17]
	v_add_f64 v[10:11], v[10:11], -v[16:17]
	v_add_f64 v[8:9], v[8:9], v[14:15]
	s_delay_alu instid0(VALU_DEP_4) | instskip(NEXT) | instid1(VALU_DEP_4)
	v_mul_f64 v[16:17], v[18:19], 0.5
	v_mul_f64 v[18:19], v[28:29], 0.5
	s_delay_alu instid0(VALU_DEP_4) | instskip(SKIP_1) | instid1(VALU_DEP_3)
	v_mul_f64 v[10:11], v[10:11], 0.5
	s_waitcnt vmcnt(1)
	v_mul_f64 v[14:15], v[16:17], v[2:3]
	s_delay_alu instid0(VALU_DEP_2) | instskip(SKIP_1) | instid1(VALU_DEP_3)
	v_fma_f64 v[28:29], v[18:19], v[2:3], v[10:11]
	v_fma_f64 v[2:3], v[18:19], v[2:3], -v[10:11]
	v_fma_f64 v[10:11], v[8:9], 0.5, v[14:15]
	v_fma_f64 v[8:9], v[8:9], 0.5, -v[14:15]
	s_delay_alu instid0(VALU_DEP_4) | instskip(NEXT) | instid1(VALU_DEP_4)
	v_fma_f64 v[14:15], -v[0:1], v[16:17], v[28:29]
	v_fma_f64 v[2:3], -v[0:1], v[16:17], v[2:3]
	v_add_nc_u32_e32 v17, v36, v13
	v_fma_f64 v[10:11], v[18:19], v[0:1], v[10:11]
	v_fma_f64 v[0:1], -v[18:19], v[0:1], v[8:9]
	ds_store_b64 v23, v[14:15] offset:8
	ds_store_b64 v12, v[2:3] offset:8072
	ds_store_b64 v23, v[10:11]
	ds_store_b64 v12, v[0:1] offset:8064
	ds_load_b128 v[0:3], v17
	ds_load_b128 v[8:11], v12 offset:7168
	s_waitcnt lgkmcnt(0)
	v_add_f64 v[13:14], v[0:1], -v[8:9]
	v_add_f64 v[15:16], v[2:3], v[10:11]
	v_add_f64 v[2:3], v[2:3], -v[10:11]
	v_add_f64 v[0:1], v[0:1], v[8:9]
	s_delay_alu instid0(VALU_DEP_4) | instskip(NEXT) | instid1(VALU_DEP_4)
	v_mul_f64 v[10:11], v[13:14], 0.5
	v_mul_f64 v[13:14], v[15:16], 0.5
	s_delay_alu instid0(VALU_DEP_4) | instskip(SKIP_1) | instid1(VALU_DEP_3)
	v_mul_f64 v[2:3], v[2:3], 0.5
	s_waitcnt vmcnt(0)
	v_mul_f64 v[8:9], v[10:11], v[6:7]
	s_delay_alu instid0(VALU_DEP_2) | instskip(SKIP_1) | instid1(VALU_DEP_3)
	v_fma_f64 v[15:16], v[13:14], v[6:7], v[2:3]
	v_fma_f64 v[2:3], v[13:14], v[6:7], -v[2:3]
	v_fma_f64 v[6:7], v[0:1], 0.5, v[8:9]
	v_fma_f64 v[0:1], v[0:1], 0.5, -v[8:9]
	s_delay_alu instid0(VALU_DEP_4) | instskip(NEXT) | instid1(VALU_DEP_4)
	v_fma_f64 v[8:9], -v[4:5], v[10:11], v[15:16]
	v_fma_f64 v[2:3], -v[4:5], v[10:11], v[2:3]
	s_delay_alu instid0(VALU_DEP_4) | instskip(NEXT) | instid1(VALU_DEP_4)
	v_fma_f64 v[6:7], v[13:14], v[4:5], v[6:7]
	v_fma_f64 v[0:1], -v[13:14], v[4:5], v[0:1]
	ds_store_b64 v17, v[8:9] offset:8
	ds_store_b64 v12, v[2:3] offset:7176
	ds_store_b64 v17, v[6:7]
	ds_store_b64 v12, v[0:1] offset:7168
	s_waitcnt lgkmcnt(0)
	s_barrier
	buffer_gl0_inv
	s_and_saveexec_b32 s0, vcc_lo
	s_cbranch_execz .LBB0_20
; %bb.18:
	v_mul_lo_u32 v2, s3, v24
	v_mul_lo_u32 v3, s2, v25
	v_mad_u64_u32 v[0:1], null, s2, v24, 0
	v_lshl_add_u32 v25, v22, 4, 0
	v_dual_mov_b32 v23, v27 :: v_dual_add_nc_u32 v26, 56, v22
	v_lshlrev_b64 v[10:11], 4, v[20:21]
	s_delay_alu instid0(VALU_DEP_4)
	v_add3_u32 v1, v1, v3, v2
	ds_load_b128 v[2:5], v25
	ds_load_b128 v[6:9], v25 offset:896
	v_lshlrev_b64 v[12:13], 4, v[22:23]
	v_lshlrev_b64 v[14:15], 4, v[26:27]
	v_add_nc_u32_e32 v26, 0x70, v22
	v_lshlrev_b64 v[0:1], 4, v[0:1]
	s_delay_alu instid0(VALU_DEP_1) | instskip(NEXT) | instid1(VALU_DEP_2)
	v_add_co_u32 v0, vcc_lo, s6, v0
	v_add_co_ci_u32_e32 v1, vcc_lo, s7, v1, vcc_lo
	s_delay_alu instid0(VALU_DEP_2) | instskip(NEXT) | instid1(VALU_DEP_2)
	v_add_co_u32 v0, vcc_lo, v0, v10
	v_add_co_ci_u32_e32 v1, vcc_lo, v1, v11, vcc_lo
	s_delay_alu instid0(VALU_DEP_2) | instskip(NEXT) | instid1(VALU_DEP_2)
	v_add_co_u32 v10, vcc_lo, v0, v12
	v_add_co_ci_u32_e32 v11, vcc_lo, v1, v13, vcc_lo
	v_add_co_u32 v12, vcc_lo, v0, v14
	v_add_co_ci_u32_e32 v13, vcc_lo, v1, v15, vcc_lo
	v_lshlrev_b64 v[14:15], 4, v[26:27]
	v_add_nc_u32_e32 v26, 0xa8, v22
	s_waitcnt lgkmcnt(1)
	global_store_b128 v[10:11], v[2:5], off
	s_waitcnt lgkmcnt(0)
	global_store_b128 v[12:13], v[6:9], off
	ds_load_b128 v[2:5], v25 offset:1792
	ds_load_b128 v[6:9], v25 offset:2688
	v_add_co_u32 v20, vcc_lo, v0, v14
	v_lshlrev_b64 v[18:19], 4, v[26:27]
	v_add_nc_u32_e32 v26, 0xe0, v22
	v_add_co_ci_u32_e32 v21, vcc_lo, v1, v15, vcc_lo
	ds_load_b128 v[10:13], v25 offset:3584
	ds_load_b128 v[14:17], v25 offset:4480
	v_lshlrev_b64 v[23:24], 4, v[26:27]
	v_add_nc_u32_e32 v26, 0x118, v22
	v_add_co_u32 v18, vcc_lo, v0, v18
	v_add_co_ci_u32_e32 v19, vcc_lo, v1, v19, vcc_lo
	s_delay_alu instid0(VALU_DEP_3) | instskip(SKIP_3) | instid1(VALU_DEP_4)
	v_lshlrev_b64 v[28:29], 4, v[26:27]
	v_add_nc_u32_e32 v26, 0x150, v22
	v_add_co_u32 v23, vcc_lo, v0, v23
	v_add_co_ci_u32_e32 v24, vcc_lo, v1, v24, vcc_lo
	v_add_co_u32 v28, vcc_lo, v0, v28
	s_delay_alu instid0(VALU_DEP_4)
	v_lshlrev_b64 v[30:31], 4, v[26:27]
	v_add_nc_u32_e32 v26, 0x188, v22
	v_add_co_ci_u32_e32 v29, vcc_lo, v1, v29, vcc_lo
	s_waitcnt lgkmcnt(3)
	global_store_b128 v[20:21], v[2:5], off
	s_waitcnt lgkmcnt(2)
	global_store_b128 v[18:19], v[6:9], off
	s_waitcnt lgkmcnt(1)
	global_store_b128 v[23:24], v[10:13], off
	s_waitcnt lgkmcnt(0)
	global_store_b128 v[28:29], v[14:17], off
	ds_load_b128 v[2:5], v25 offset:5376
	ds_load_b128 v[6:9], v25 offset:6272
	v_lshlrev_b64 v[18:19], 4, v[26:27]
	v_add_nc_u32_e32 v26, 0x1c0, v22
	ds_load_b128 v[10:13], v25 offset:7168
	ds_load_b128 v[14:17], v25 offset:8064
	v_add_co_u32 v20, vcc_lo, v0, v30
	v_add_co_ci_u32_e32 v21, vcc_lo, v1, v31, vcc_lo
	v_lshlrev_b64 v[23:24], 4, v[26:27]
	v_add_nc_u32_e32 v26, 0x1f8, v22
	v_add_co_u32 v18, vcc_lo, v0, v18
	v_add_co_ci_u32_e32 v19, vcc_lo, v1, v19, vcc_lo
	s_delay_alu instid0(VALU_DEP_3) | instskip(SKIP_3) | instid1(VALU_DEP_3)
	v_lshlrev_b64 v[28:29], 4, v[26:27]
	v_add_nc_u32_e32 v26, 0x230, v22
	v_add_co_u32 v23, vcc_lo, v0, v23
	v_add_co_ci_u32_e32 v24, vcc_lo, v1, v24, vcc_lo
	v_lshlrev_b64 v[30:31], 4, v[26:27]
	v_add_nc_u32_e32 v26, 0x268, v22
	v_add_co_u32 v28, vcc_lo, v0, v28
	v_add_co_ci_u32_e32 v29, vcc_lo, v1, v29, vcc_lo
	s_waitcnt lgkmcnt(3)
	global_store_b128 v[20:21], v[2:5], off
	s_waitcnt lgkmcnt(2)
	global_store_b128 v[18:19], v[6:9], off
	;; [unrolled: 2-line block ×4, first 2 shown]
	v_lshlrev_b64 v[20:21], 4, v[26:27]
	v_add_nc_u32_e32 v26, 0x2a0, v22
	ds_load_b128 v[2:5], v25 offset:8960
	ds_load_b128 v[6:9], v25 offset:9856
	;; [unrolled: 1-line block ×4, first 2 shown]
	v_add_co_u32 v18, vcc_lo, v0, v30
	v_add_co_ci_u32_e32 v19, vcc_lo, v1, v31, vcc_lo
	v_lshlrev_b64 v[23:24], 4, v[26:27]
	v_add_nc_u32_e32 v26, 0x2d8, v22
	v_add_co_u32 v20, vcc_lo, v0, v20
	v_add_co_ci_u32_e32 v21, vcc_lo, v1, v21, vcc_lo
	s_delay_alu instid0(VALU_DEP_3) | instskip(SKIP_2) | instid1(VALU_DEP_3)
	v_lshlrev_b64 v[25:26], 4, v[26:27]
	v_add_co_u32 v23, vcc_lo, v0, v23
	v_add_co_ci_u32_e32 v24, vcc_lo, v1, v24, vcc_lo
	v_add_co_u32 v25, vcc_lo, v0, v25
	s_delay_alu instid0(VALU_DEP_4)
	v_add_co_ci_u32_e32 v26, vcc_lo, v1, v26, vcc_lo
	v_cmp_eq_u32_e32 vcc_lo, 55, v22
	s_waitcnt lgkmcnt(3)
	global_store_b128 v[18:19], v[2:5], off
	s_waitcnt lgkmcnt(2)
	global_store_b128 v[20:21], v[6:9], off
	;; [unrolled: 2-line block ×4, first 2 shown]
	s_and_b32 exec_lo, exec_lo, vcc_lo
	s_cbranch_execz .LBB0_20
; %bb.19:
	v_mov_b32_e32 v2, 0
	v_add_co_u32 v0, vcc_lo, 0x3000, v0
	v_add_co_ci_u32_e32 v1, vcc_lo, 0, v1, vcc_lo
	ds_load_b128 v[2:5], v2 offset:12544
	s_waitcnt lgkmcnt(0)
	global_store_b128 v[0:1], v[2:5], off offset:256
.LBB0_20:
	s_nop 0
	s_sendmsg sendmsg(MSG_DEALLOC_VGPRS)
	s_endpgm
	.section	.rodata,"a",@progbits
	.p2align	6, 0x0
	.amdhsa_kernel fft_rtc_fwd_len784_factors_2_2_2_2_7_7_wgs_56_tpt_56_halfLds_dp_op_CI_CI_unitstride_sbrr_R2C_dirReg
		.amdhsa_group_segment_fixed_size 0
		.amdhsa_private_segment_fixed_size 0
		.amdhsa_kernarg_size 104
		.amdhsa_user_sgpr_count 15
		.amdhsa_user_sgpr_dispatch_ptr 0
		.amdhsa_user_sgpr_queue_ptr 0
		.amdhsa_user_sgpr_kernarg_segment_ptr 1
		.amdhsa_user_sgpr_dispatch_id 0
		.amdhsa_user_sgpr_private_segment_size 0
		.amdhsa_wavefront_size32 1
		.amdhsa_uses_dynamic_stack 0
		.amdhsa_enable_private_segment 0
		.amdhsa_system_sgpr_workgroup_id_x 1
		.amdhsa_system_sgpr_workgroup_id_y 0
		.amdhsa_system_sgpr_workgroup_id_z 0
		.amdhsa_system_sgpr_workgroup_info 0
		.amdhsa_system_vgpr_workitem_id 0
		.amdhsa_next_free_vgpr 119
		.amdhsa_next_free_sgpr 28
		.amdhsa_reserve_vcc 1
		.amdhsa_float_round_mode_32 0
		.amdhsa_float_round_mode_16_64 0
		.amdhsa_float_denorm_mode_32 3
		.amdhsa_float_denorm_mode_16_64 3
		.amdhsa_dx10_clamp 1
		.amdhsa_ieee_mode 1
		.amdhsa_fp16_overflow 0
		.amdhsa_workgroup_processor_mode 1
		.amdhsa_memory_ordered 1
		.amdhsa_forward_progress 0
		.amdhsa_shared_vgpr_count 0
		.amdhsa_exception_fp_ieee_invalid_op 0
		.amdhsa_exception_fp_denorm_src 0
		.amdhsa_exception_fp_ieee_div_zero 0
		.amdhsa_exception_fp_ieee_overflow 0
		.amdhsa_exception_fp_ieee_underflow 0
		.amdhsa_exception_fp_ieee_inexact 0
		.amdhsa_exception_int_div_zero 0
	.end_amdhsa_kernel
	.text
.Lfunc_end0:
	.size	fft_rtc_fwd_len784_factors_2_2_2_2_7_7_wgs_56_tpt_56_halfLds_dp_op_CI_CI_unitstride_sbrr_R2C_dirReg, .Lfunc_end0-fft_rtc_fwd_len784_factors_2_2_2_2_7_7_wgs_56_tpt_56_halfLds_dp_op_CI_CI_unitstride_sbrr_R2C_dirReg
                                        ; -- End function
	.section	.AMDGPU.csdata,"",@progbits
; Kernel info:
; codeLenInByte = 12456
; NumSgprs: 30
; NumVgprs: 119
; ScratchSize: 0
; MemoryBound: 0
; FloatMode: 240
; IeeeMode: 1
; LDSByteSize: 0 bytes/workgroup (compile time only)
; SGPRBlocks: 3
; VGPRBlocks: 14
; NumSGPRsForWavesPerEU: 30
; NumVGPRsForWavesPerEU: 119
; Occupancy: 12
; WaveLimiterHint : 1
; COMPUTE_PGM_RSRC2:SCRATCH_EN: 0
; COMPUTE_PGM_RSRC2:USER_SGPR: 15
; COMPUTE_PGM_RSRC2:TRAP_HANDLER: 0
; COMPUTE_PGM_RSRC2:TGID_X_EN: 1
; COMPUTE_PGM_RSRC2:TGID_Y_EN: 0
; COMPUTE_PGM_RSRC2:TGID_Z_EN: 0
; COMPUTE_PGM_RSRC2:TIDIG_COMP_CNT: 0
	.text
	.p2alignl 7, 3214868480
	.fill 96, 4, 3214868480
	.type	__hip_cuid_4fc135f5e697ae0d,@object ; @__hip_cuid_4fc135f5e697ae0d
	.section	.bss,"aw",@nobits
	.globl	__hip_cuid_4fc135f5e697ae0d
__hip_cuid_4fc135f5e697ae0d:
	.byte	0                               ; 0x0
	.size	__hip_cuid_4fc135f5e697ae0d, 1

	.ident	"AMD clang version 19.0.0git (https://github.com/RadeonOpenCompute/llvm-project roc-6.4.0 25133 c7fe45cf4b819c5991fe208aaa96edf142730f1d)"
	.section	".note.GNU-stack","",@progbits
	.addrsig
	.addrsig_sym __hip_cuid_4fc135f5e697ae0d
	.amdgpu_metadata
---
amdhsa.kernels:
  - .args:
      - .actual_access:  read_only
        .address_space:  global
        .offset:         0
        .size:           8
        .value_kind:     global_buffer
      - .offset:         8
        .size:           8
        .value_kind:     by_value
      - .actual_access:  read_only
        .address_space:  global
        .offset:         16
        .size:           8
        .value_kind:     global_buffer
      - .actual_access:  read_only
        .address_space:  global
        .offset:         24
        .size:           8
        .value_kind:     global_buffer
      - .actual_access:  read_only
        .address_space:  global
        .offset:         32
        .size:           8
        .value_kind:     global_buffer
      - .offset:         40
        .size:           8
        .value_kind:     by_value
      - .actual_access:  read_only
        .address_space:  global
        .offset:         48
        .size:           8
        .value_kind:     global_buffer
      - .actual_access:  read_only
        .address_space:  global
        .offset:         56
        .size:           8
        .value_kind:     global_buffer
      - .offset:         64
        .size:           4
        .value_kind:     by_value
      - .actual_access:  read_only
        .address_space:  global
        .offset:         72
        .size:           8
        .value_kind:     global_buffer
      - .actual_access:  read_only
        .address_space:  global
        .offset:         80
        .size:           8
        .value_kind:     global_buffer
      - .actual_access:  read_only
        .address_space:  global
        .offset:         88
        .size:           8
        .value_kind:     global_buffer
      - .actual_access:  write_only
        .address_space:  global
        .offset:         96
        .size:           8
        .value_kind:     global_buffer
    .group_segment_fixed_size: 0
    .kernarg_segment_align: 8
    .kernarg_segment_size: 104
    .language:       OpenCL C
    .language_version:
      - 2
      - 0
    .max_flat_workgroup_size: 56
    .name:           fft_rtc_fwd_len784_factors_2_2_2_2_7_7_wgs_56_tpt_56_halfLds_dp_op_CI_CI_unitstride_sbrr_R2C_dirReg
    .private_segment_fixed_size: 0
    .sgpr_count:     30
    .sgpr_spill_count: 0
    .symbol:         fft_rtc_fwd_len784_factors_2_2_2_2_7_7_wgs_56_tpt_56_halfLds_dp_op_CI_CI_unitstride_sbrr_R2C_dirReg.kd
    .uniform_work_group_size: 1
    .uses_dynamic_stack: false
    .vgpr_count:     119
    .vgpr_spill_count: 0
    .wavefront_size: 32
    .workgroup_processor_mode: 1
amdhsa.target:   amdgcn-amd-amdhsa--gfx1100
amdhsa.version:
  - 1
  - 2
...

	.end_amdgpu_metadata
